;; amdgpu-corpus repo=LLNL/RAJAPerf kind=compiled arch=gfx906 opt=O3
	.amdgcn_target "amdgcn-amd-amdhsa--gfx906"
	.amdhsa_code_object_version 6
	.section	.text._ZN8rajaperf4apps10FEMSweep3DILm64EEEvPdS2_S2_S2_S2_S2_lllPlS3_S3_S3_S3_S3_S3_S3_S3_,"axG",@progbits,_ZN8rajaperf4apps10FEMSweep3DILm64EEEvPdS2_S2_S2_S2_S2_lllPlS3_S3_S3_S3_S3_S3_S3_S3_,comdat
	.protected	_ZN8rajaperf4apps10FEMSweep3DILm64EEEvPdS2_S2_S2_S2_S2_lllPlS3_S3_S3_S3_S3_S3_S3_S3_ ; -- Begin function _ZN8rajaperf4apps10FEMSweep3DILm64EEEvPdS2_S2_S2_S2_S2_lllPlS3_S3_S3_S3_S3_S3_S3_S3_
	.globl	_ZN8rajaperf4apps10FEMSweep3DILm64EEEvPdS2_S2_S2_S2_S2_lllPlS3_S3_S3_S3_S3_S3_S3_S3_
	.p2align	8
	.type	_ZN8rajaperf4apps10FEMSweep3DILm64EEEvPdS2_S2_S2_S2_S2_lllPlS3_S3_S3_S3_S3_S3_S3_S3_,@function
_ZN8rajaperf4apps10FEMSweep3DILm64EEEvPdS2_S2_S2_S2_S2_lllPlS3_S3_S3_S3_S3_S3_S3_S3_: ; @_ZN8rajaperf4apps10FEMSweep3DILm64EEEvPdS2_S2_S2_S2_S2_lllPlS3_S3_S3_S3_S3_S3_S3_S3_
; %bb.0:
	s_load_dwordx16 s[8:23], s[4:5], 0x40
	s_load_dwordx16 s[36:51], s[4:5], 0x0
	s_mov_b32 s0, s7
	s_mov_b32 s1, 0
	s_lshl_b64 s[2:3], s[0:1], 3
	s_waitcnt lgkmcnt(0)
	s_add_u32 s26, s10, s2
	s_addc_u32 s27, s11, s3
	s_add_u32 s24, s12, s2
	s_addc_u32 s25, s13, s3
	s_mul_i32 s2, s49, s7
	s_mul_hi_u32 s3, s48, s7
	s_add_i32 s11, s3, s2
	s_mul_i32 s10, s48, s7
	s_lshl_b64 s[2:3], s[10:11], 3
	s_add_u32 s12, s16, s2
	s_addc_u32 s13, s17, s3
	s_load_dwordx2 s[12:13], s[12:13], 0x0
	v_mov_b32_e32 v1, 0
	v_mov_b32_e32 v2, 0x41d00000
	s_waitcnt lgkmcnt(0)
	s_add_u32 s12, s12, s10
	s_addc_u32 s13, s13, s11
	s_lshl_b64 s[12:13], s[12:13], 9
	s_add_u32 s12, s38, s12
	s_addc_u32 s13, s39, s13
	s_load_dwordx2 s[12:13], s[12:13], 0x0
	s_waitcnt lgkmcnt(0)
	v_cmp_nlt_f64_e64 s[28:29], |s[12:13]|, v[1:2]
	s_and_b64 vcc, exec, s[28:29]
	s_cbranch_vccz .LBB0_2
; %bb.1:
	v_trig_preop_f64 v[1:2], |s[12:13]|, 0
	v_mov_b32_e32 v3, 0
	v_mov_b32_e32 v4, 0x7b000000
	;; [unrolled: 1-line block ×3, first 2 shown]
	v_ldexp_f64 v[5:6], |s[12:13]|, v5
	v_cmp_ge_f64_e64 vcc, |s[12:13]|, v[3:4]
	v_trig_preop_f64 v[3:4], |s[12:13]|, 1
	s_and_b32 s7, s13, 0x7fffffff
	v_mov_b32_e32 v7, s7
	v_mov_b32_e32 v8, s12
	v_trig_preop_f64 v[13:14], |s[12:13]|, 2
	s_mov_b32 s28, 0
	s_mov_b32 s29, 0x7ff00000
	v_cndmask_b32_e32 v6, v7, v6, vcc
	v_cndmask_b32_e32 v5, v8, v5, vcc
	v_mul_f64 v[7:8], v[1:2], v[5:6]
	v_mul_f64 v[9:10], v[3:4], v[5:6]
	v_fma_f64 v[1:2], v[1:2], v[5:6], -v[7:8]
	v_mul_f64 v[19:20], v[13:14], v[5:6]
	v_fma_f64 v[3:4], v[3:4], v[5:6], -v[9:10]
	v_add_f64 v[11:12], v[9:10], v[1:2]
	v_fma_f64 v[5:6], v[13:14], v[5:6], -v[19:20]
	v_add_f64 v[15:16], v[11:12], -v[9:10]
	v_add_f64 v[21:22], v[7:8], v[11:12]
	v_add_f64 v[17:18], v[11:12], -v[15:16]
	v_add_f64 v[1:2], v[1:2], -v[15:16]
	v_add_f64 v[15:16], v[19:20], v[3:4]
	v_add_f64 v[7:8], v[21:22], -v[7:8]
	v_add_f64 v[9:10], v[9:10], -v[17:18]
	v_ldexp_f64 v[17:18], v[21:22], -2
	v_add_f64 v[7:8], v[11:12], -v[7:8]
	v_add_f64 v[1:2], v[1:2], v[9:10]
	v_fract_f64_e32 v[9:10], v[17:18]
	v_cmp_neq_f64_e64 vcc, |v[17:18]|, s[28:29]
	s_mov_b32 s28, s1
	v_add_f64 v[11:12], v[15:16], v[1:2]
	v_ldexp_f64 v[9:10], v[9:10], 2
	v_add_f64 v[17:18], v[7:8], v[11:12]
	v_cndmask_b32_e32 v10, 0, v10, vcc
	v_cndmask_b32_e32 v9, 0, v9, vcc
	v_add_f64 v[23:24], v[11:12], -v[15:16]
	v_add_f64 v[21:22], v[17:18], v[9:10]
	v_add_f64 v[7:8], v[17:18], -v[7:8]
	v_add_f64 v[27:28], v[11:12], -v[23:24]
	;; [unrolled: 1-line block ×3, first 2 shown]
	v_cmp_gt_f64_e32 vcc, 0, v[21:22]
	v_add_f64 v[21:22], v[15:16], -v[19:20]
	v_add_f64 v[7:8], v[11:12], -v[7:8]
	s_and_b64 s[30:31], vcc, exec
	s_cselect_b32 s29, 0x40100000, 0
	v_add_f64 v[9:10], v[9:10], s[28:29]
	v_add_f64 v[25:26], v[15:16], -v[21:22]
	v_add_f64 v[3:4], v[3:4], -v[21:22]
	;; [unrolled: 1-line block ×3, first 2 shown]
	v_add_f64 v[29:30], v[17:18], v[9:10]
	v_add_f64 v[21:22], v[19:20], -v[25:26]
	v_add_f64 v[1:2], v[1:2], v[15:16]
	v_cvt_i32_f64_e32 v25, v[29:30]
	v_add_f64 v[3:4], v[3:4], v[21:22]
	v_cvt_f64_i32_e32 v[23:24], v25
	v_readfirstlane_b32 s1, v25
	v_add_f64 v[9:10], v[9:10], -v[23:24]
	v_add_f64 v[1:2], v[3:4], v[1:2]
	v_add_f64 v[3:4], v[17:18], v[9:10]
	;; [unrolled: 1-line block ×3, first 2 shown]
	v_add_f64 v[5:6], v[3:4], -v[9:10]
	v_cmp_le_f64_e32 vcc, 0.5, v[3:4]
	v_add_f64 v[1:2], v[7:8], v[1:2]
	v_add_f64 v[5:6], v[17:18], -v[5:6]
	s_cmp_lg_u64 vcc, 0
	s_addc_u32 s1, s1, 0
	s_and_b64 s[30:31], vcc, exec
	s_cselect_b32 s29, 0x3ff00000, 0
	v_add_f64 v[3:4], v[3:4], -s[28:29]
	s_mov_b32 s28, 0x54442d18
	s_mov_b32 s29, 0x3ff921fb
	v_add_f64 v[1:2], v[1:2], v[5:6]
	s_mov_b32 s30, 0x33145c07
	s_mov_b32 s31, 0x3c91a626
	v_add_f64 v[5:6], v[3:4], v[1:2]
	v_mul_f64 v[7:8], v[5:6], s[28:29]
	v_add_f64 v[3:4], v[5:6], -v[3:4]
	v_fma_f64 v[9:10], v[5:6], s[28:29], -v[7:8]
	v_add_f64 v[1:2], v[1:2], -v[3:4]
	v_fma_f64 v[3:4], v[5:6], s[30:31], v[9:10]
	v_fma_f64 v[3:4], v[1:2], s[28:29], v[3:4]
	v_add_f64 v[1:2], v[7:8], v[3:4]
	v_add_f64 v[5:6], v[1:2], -v[7:8]
	v_add_f64 v[3:4], v[3:4], -v[5:6]
	s_load_dwordx2 s[28:29], s[26:27], 0x0
	s_cbranch_execz .LBB0_3
	s_branch .LBB0_4
.LBB0_2:
                                        ; implicit-def: $sgpr1
                                        ; implicit-def: $vgpr1_vgpr2
                                        ; implicit-def: $vgpr3_vgpr4
	s_load_dwordx2 s[28:29], s[26:27], 0x0
.LBB0_3:
	v_mov_b32_e32 v1, 0x6dc9c883
	v_mov_b32_e32 v2, 0x3fe45f30
	v_mul_f64 v[1:2], |s[12:13]|, v[1:2]
	s_mov_b32 s26, 0x54442d18
	s_mov_b32 s27, 0xbff921fb
	;; [unrolled: 1-line block ×4, first 2 shown]
	v_rndne_f64_e32 v[5:6], v[1:2]
	v_mov_b32_e32 v1, s12
	v_mov_b32_e32 v2, s13
	v_fma_f64 v[1:2], v[5:6], s[26:27], |v[1:2]|
	v_mul_f64 v[3:4], v[5:6], s[30:31]
	s_mov_b32 s26, 0x252049c0
	s_mov_b32 s27, 0xb97b839a
	v_fma_f64 v[11:12], v[5:6], s[30:31], v[1:2]
	v_add_f64 v[7:8], v[1:2], v[3:4]
	s_mov_b32 s31, 0x3c91a626
	v_add_f64 v[9:10], v[1:2], -v[7:8]
	v_add_f64 v[7:8], v[7:8], -v[11:12]
	v_add_f64 v[1:2], v[9:10], v[3:4]
	v_fma_f64 v[3:4], v[5:6], s[30:31], v[3:4]
	v_add_f64 v[1:2], v[7:8], v[1:2]
	v_add_f64 v[1:2], v[1:2], -v[3:4]
	v_fma_f64 v[3:4], v[5:6], s[26:27], v[1:2]
	v_cvt_i32_f64_e32 v5, v[5:6]
	v_readfirstlane_b32 s1, v5
	v_add_f64 v[1:2], v[11:12], v[3:4]
	v_add_f64 v[7:8], v[1:2], -v[11:12]
	v_add_f64 v[3:4], v[3:4], -v[7:8]
.LBB0_4:
	s_waitcnt lgkmcnt(0)
	v_cmp_lt_i64_e64 s[26:27], s[28:29], 1
	s_and_b64 vcc, exec, s[26:27]
	s_cbranch_vccnz .LBB0_22
; %bb.5:
	v_mul_f64 v[5:6], v[1:2], v[1:2]
	s_mov_b32 s26, 0xf9a43bb8
	v_mov_b32_e32 v9, 0xb42fdfa7
	v_mov_b32_e32 v10, 0xbe5ae600
	s_mov_b32 s27, 0x3de5e0b2
	s_mov_b32 s30, 0x796cde01
	v_mov_b32_e32 v7, 0x9037ab78
	v_mov_b32_e32 v8, 0x3e21eeb6
	v_fma_f64 v[9:10], v[5:6], s[26:27], v[9:10]
	s_mov_b32 s26, 0x46cc5e42
	s_mov_b32 s27, 0xbda907db
	;; [unrolled: 1-line block ×3, first 2 shown]
	v_fma_f64 v[7:8], v[5:6], s[26:27], v[7:8]
	v_mul_f64 v[11:12], v[5:6], 0.5
	s_mov_b32 s34, 0xa17f65f6
	s_mov_b32 s35, 0xbe927e4f
	v_fma_f64 v[9:10], v[5:6], v[9:10], s[30:31]
	s_mov_b32 s30, 0x19e83e5c
	s_mov_b32 s31, 0xbf2a01a0
	;; [unrolled: 1-line block ×3, first 2 shown]
	v_fma_f64 v[7:8], v[5:6], v[7:8], s[34:35]
	v_add_f64 v[13:14], -v[11:12], 1.0
	s_mov_b32 s27, 0x3efa01a0
	v_mul_f64 v[15:16], v[3:4], 0.5
	v_fma_f64 v[9:10], v[5:6], v[9:10], s[30:31]
	s_mov_b32 s30, 0x11110bb3
	s_mov_b32 s31, 0x3f811111
	v_mul_f64 v[17:18], v[1:2], -v[5:6]
	v_fma_f64 v[7:8], v[5:6], v[7:8], s[26:27]
	v_add_f64 v[19:20], -v[13:14], 1.0
	s_mov_b32 s52, 0x16c16967
	s_mov_b32 s53, 0xbf56c16c
	v_fma_f64 v[9:10], v[5:6], v[9:10], s[30:31]
	s_mov_b32 s55, 0x3fa55555
	s_mov_b32 s54, 0x55555555
	s_load_dwordx2 s[34:35], s[24:25], 0x0
	v_fma_f64 v[7:8], v[5:6], v[7:8], s[52:53]
	v_add_f64 v[11:12], v[19:20], -v[11:12]
	s_bitcmp0_b32 s1, 0
	v_mov_b32_e32 v19, 0x1f8
	v_fma_f64 v[9:10], v[17:18], v[9:10], v[15:16]
	v_mul_f64 v[15:16], v[5:6], v[5:6]
	s_load_dwordx4 s[24:27], s[4:5], 0x80
	s_mul_hi_u32 s7, s10, s50
	v_fma_f64 v[7:8], v[5:6], v[7:8], s[54:55]
	v_fma_f64 v[11:12], v[1:2], -v[3:4], v[11:12]
	s_mov_b32 s55, 0xbfc55555
	s_mul_i32 s33, s11, s50
	v_fma_f64 v[3:4], v[5:6], v[9:10], -v[3:4]
	s_mul_i32 s4, s10, s50
	s_mul_hi_u32 s52, s50, s0
	s_mul_i32 s50, s50, s0
	s_mul_i32 s5, s10, s51
	v_fma_f64 v[5:6], v[15:16], v[7:8], v[11:12]
	s_mul_i32 s51, s51, s0
	s_mul_i32 s53, s49, s6
	v_fma_f64 v[3:4], v[17:18], s[54:55], v[3:4]
	s_mul_i32 s9, s9, s0
	s_mul_hi_u32 s55, s8, s0
	s_mul_i32 s8, s8, s0
	s_mul_i32 s56, s50, s49
	v_add_f64 v[5:6], v[13:14], v[5:6]
	s_cselect_b64 vcc, -1, 0
	s_lshl_b32 s49, s1, 30
	v_add_f64 v[2:3], v[1:2], -v[3:4]
	v_cmp_class_f64_e64 s[0:1], s[12:13], v19
	s_add_i32 s5, s7, s5
	s_xor_b32 s7, s49, s13
	s_and_b32 s7, s7, 0x80000000
	v_mov_b32_e32 v20, 0x7ff80000
	s_mul_hi_u32 s54, s48, s6
	s_add_i32 s12, s52, s51
	v_cndmask_b32_e32 v3, v6, v3, vcc
	v_cndmask_b32_e32 v2, v5, v2, vcc
	v_xor_b32_e32 v3, s7, v3
	v_cndmask_b32_e64 v2, 0, v2, s[0:1]
	v_cndmask_b32_e64 v3, v20, v3, s[0:1]
	s_add_i32 s7, s54, s53
	s_add_i32 s9, s55, s9
	s_waitcnt lgkmcnt(0)
	s_lshl_b64 s[0:1], s[34:35], 3
	s_add_i32 s5, s5, s33
	s_mul_hi_u32 s57, s50, s48
	s_add_u32 s33, s14, s0
	s_mul_i32 s12, s12, s48
	s_addc_u32 s49, s15, s1
	s_add_i32 s0, s57, s56
	s_add_i32 s1, s0, s12
	s_lshl_b64 s[14:15], s[8:9], 8
	s_lshl_b64 s[8:9], s[10:11], 6
	s_mul_i32 s6, s48, s6
	s_mul_i32 s0, s50, s48
	s_add_u32 s48, s36, s8
	s_addc_u32 s50, s37, s9
	s_lshl_b64 s[8:9], s[10:11], 9
	s_add_u32 s51, s38, s8
	v_add_f64 v[2:3], v[2:3], -2.0
	s_addc_u32 s52, s39, s9
	s_mul_i32 s8, s11, 48
	s_mul_hi_u32 s9, s10, 48
	s_add_i32 s9, s9, s8
	s_mul_i32 s8, s10, 48
	s_add_u32 s18, s18, s8
	s_addc_u32 s19, s19, s9
	s_lshl_b64 s[8:9], s[6:7], 6
	s_add_u32 s8, s42, s8
	s_addc_u32 s9, s43, s9
	s_lshl_b64 s[0:1], s[0:1], 6
	;; [unrolled: 3-line block ×3, first 2 shown]
	v_max_f64 v[146:147], v[2:3], 0
	s_add_u32 s44, s44, s0
	s_addc_u32 s45, s45, s1
	s_lshl_b64 s[0:1], s[4:5], 6
	s_add_u32 s55, s8, s0
	s_addc_u32 s56, s9, s1
	s_add_u32 s0, s16, s2
	v_lshlrev_b32_e32 v2, 3, v0
	s_addc_u32 s1, s17, s3
	v_mov_b32_e32 v3, s1
	v_add_co_u32_e32 v164, vcc, s0, v2
	s_mov_b64 s[30:31], 0
	v_mov_b32_e32 v1, 0
	v_addc_co_u32_e32 v165, vcc, 0, v3, vcc
	v_mov_b32_e32 v166, 0x80
	s_mov_b64 s[16:17], 0
	s_branch .LBB0_7
.LBB0_6:                                ;   in Loop: Header=BB0_7 Depth=1
	s_or_b64 exec, exec, s[36:37]
	s_add_u32 s30, s34, s30
	s_addc_u32 s31, s35, s31
	s_add_u32 s16, s16, 1
	s_addc_u32 s17, s17, 0
	s_cmp_eq_u64 s[16:17], s[28:29]
	; wave barrier
	s_cbranch_scc1 .LBB0_22
.LBB0_7:                                ; =>This Loop Header: Depth=1
                                        ;     Child Loop BB0_10 Depth 2
	s_lshl_b64 s[0:1], s[16:17], 3
	s_add_u32 s0, s33, s0
	s_addc_u32 s1, s49, s1
	s_load_dwordx2 s[34:35], s[0:1], 0x0
	s_waitcnt lgkmcnt(0)
	v_cmp_gt_i64_e32 vcc, s[34:35], v[0:1]
	s_and_saveexec_b64 s[36:37], vcc
	s_cbranch_execz .LBB0_6
; %bb.8:                                ;   in Loop: Header=BB0_7 Depth=1
	s_lshl_b64 s[0:1], s[30:31], 3
	v_mov_b32_e32 v2, s1
	v_add_co_u32_e32 v148, vcc, s0, v164
	v_mov_b32_e32 v151, v1
	v_addc_co_u32_e32 v149, vcc, v165, v2, vcc
	s_mov_b64 s[38:39], 0
	v_mov_b32_e32 v150, v0
	s_branch .LBB0_10
.LBB0_9:                                ;   in Loop: Header=BB0_10 Depth=2
	s_or_b64 exec, exec, s[42:43]
	v_lshlrev_b64 v[154:155], 3, v[154:155]
	v_mov_b32_e32 v158, s45
	v_add_co_u32_e32 v154, vcc, s44, v154
	v_addc_co_u32_e32 v155, vcc, v158, v155, vcc
	global_load_dwordx2 v[154:155], v[154:155], off
	v_mov_b32_e32 v158, s47
	v_add_co_u32_e32 v156, vcc, s46, v156
	v_addc_co_u32_e32 v157, vcc, v158, v157, vcc
	global_load_dwordx4 v[158:161], v[156:157], off
	global_load_dwordx4 v[167:170], v[156:157], off offset:16
	global_load_dwordx4 v[171:174], v[156:157], off offset:32
	global_load_dwordx4 v[175:178], v[156:157], off offset:48
	s_waitcnt vmcnt(3)
	v_fma_f64 v[142:143], v[154:155], v[158:159], v[142:143]
	v_fma_f64 v[144:145], v[154:155], v[160:161], v[144:145]
	s_waitcnt vmcnt(2)
	v_fma_f64 v[162:163], v[154:155], v[167:168], v[138:139]
	v_fma_f64 v[140:141], v[154:155], v[169:170], v[140:141]
	;; [unrolled: 3-line block ×4, first 2 shown]
	global_load_dwordx4 v[132:135], v[156:157], off offset:112
	global_load_dwordx4 v[136:139], v[156:157], off offset:96
	;; [unrolled: 1-line block ×4, first 2 shown]
	v_div_scale_f64 v[130:131], s[0:1], v[142:143], v[142:143], v[144:145]
	v_div_scale_f64 v[171:172], s[0:1], v[142:143], v[142:143], v[162:163]
	;; [unrolled: 1-line block ×7, first 2 shown]
	v_div_scale_f64 v[205:206], vcc, v[144:145], v[142:143], v[144:145]
	v_rcp_f64_e32 v[191:192], v[130:131]
	v_div_scale_f64 v[207:208], s[0:1], v[162:163], v[142:143], v[162:163]
	v_rcp_f64_e32 v[193:194], v[171:172]
	v_rcp_f64_e32 v[195:196], v[173:174]
	v_div_scale_f64 v[209:210], s[2:3], v[140:141], v[142:143], v[140:141]
	v_rcp_f64_e32 v[197:198], v[183:184]
	;; [unrolled: 3-line block ×3, first 2 shown]
	v_rcp_f64_e32 v[203:204], v[189:190]
	v_div_scale_f64 v[213:214], s[6:7], v[181:182], v[142:143], v[181:182]
	v_div_scale_f64 v[229:230], s[8:9], v[175:176], v[142:143], v[175:176]
	v_fma_f64 v[215:216], -v[130:131], v[191:192], 1.0
	v_fma_f64 v[217:218], -v[171:172], v[193:194], 1.0
	;; [unrolled: 1-line block ×5, first 2 shown]
	v_fma_f64 v[191:192], v[191:192], v[215:216], v[191:192]
	v_div_scale_f64 v[215:216], s[10:11], v[177:178], v[142:143], v[177:178]
	v_fma_f64 v[225:226], -v[187:188], v[201:202], 1.0
	v_fma_f64 v[227:228], -v[189:190], v[203:204], 1.0
	v_fma_f64 v[193:194], v[193:194], v[217:218], v[193:194]
	v_fma_f64 v[195:196], v[195:196], v[219:220], v[195:196]
	;; [unrolled: 1-line block ×4, first 2 shown]
	v_fma_f64 v[217:218], -v[130:131], v[191:192], 1.0
	v_fma_f64 v[201:202], v[201:202], v[225:226], v[201:202]
	v_fma_f64 v[203:204], v[203:204], v[227:228], v[203:204]
	v_fma_f64 v[219:220], -v[171:172], v[193:194], 1.0
	v_fma_f64 v[221:222], -v[173:174], v[195:196], 1.0
	v_fma_f64 v[223:224], -v[183:184], v[197:198], 1.0
	v_fma_f64 v[225:226], -v[185:186], v[199:200], 1.0
	v_fma_f64 v[191:192], v[191:192], v[217:218], v[191:192]
	v_fma_f64 v[227:228], -v[187:188], v[201:202], 1.0
	v_fma_f64 v[231:232], -v[189:190], v[203:204], 1.0
	v_fma_f64 v[193:194], v[193:194], v[219:220], v[193:194]
	v_fma_f64 v[195:196], v[195:196], v[221:222], v[195:196]
	;; [unrolled: 1-line block ×4, first 2 shown]
	v_mul_f64 v[217:218], v[205:206], v[191:192]
	v_fma_f64 v[201:202], v[201:202], v[227:228], v[201:202]
	v_fma_f64 v[203:204], v[203:204], v[231:232], v[203:204]
	v_mul_f64 v[219:220], v[207:208], v[193:194]
	v_mul_f64 v[221:222], v[209:210], v[195:196]
	;; [unrolled: 1-line block ×4, first 2 shown]
	v_fma_f64 v[130:131], -v[130:131], v[217:218], v[205:206]
	v_mul_f64 v[227:228], v[229:230], v[201:202]
	v_mul_f64 v[231:232], v[215:216], v[203:204]
	v_fma_f64 v[171:172], -v[171:172], v[219:220], v[207:208]
	v_fma_f64 v[173:174], -v[173:174], v[221:222], v[209:210]
	;; [unrolled: 1-line block ×4, first 2 shown]
	v_div_fmas_f64 v[191:192], v[130:131], v[191:192], v[217:218]
	s_mov_b64 vcc, s[0:1]
	v_fma_f64 v[187:188], -v[187:188], v[227:228], v[229:230]
	v_fma_f64 v[189:190], -v[189:190], v[231:232], v[215:216]
	v_div_fmas_f64 v[193:194], v[171:172], v[193:194], v[219:220]
	s_mov_b64 vcc, s[2:3]
	v_div_fmas_f64 v[195:196], v[173:174], v[195:196], v[221:222]
	s_mov_b64 vcc, s[4:5]
	;; [unrolled: 2-line block ×5, first 2 shown]
	v_div_fmas_f64 v[189:190], v[189:190], v[203:204], v[231:232]
	s_waitcnt vmcnt(0)
	v_fma_f64 v[130:131], v[154:155], v[167:168], v[126:127]
	v_fma_f64 v[167:168], v[154:155], v[169:170], v[128:129]
	;; [unrolled: 1-line block ×4, first 2 shown]
	v_div_fixup_f64 v[118:119], v[191:192], v[142:143], v[144:145]
	v_div_fixup_f64 v[120:121], v[193:194], v[142:143], v[162:163]
	v_fma_f64 v[132:133], v[154:155], v[132:133], v[114:115]
	v_div_fixup_f64 v[114:115], v[195:196], v[142:143], v[140:141]
	v_fma_f64 v[158:159], v[154:155], v[158:159], v[122:123]
	;; [unrolled: 2-line block ×3, first 2 shown]
	v_div_fixup_f64 v[124:125], v[185:186], v[142:143], v[181:182]
	global_load_dwordx4 v[171:174], v[156:157], off offset:128
	v_div_fixup_f64 v[126:127], v[187:188], v[142:143], v[175:176]
	v_fma_f64 v[136:137], v[118:119], v[130:131], 0
	v_div_fixup_f64 v[128:129], v[189:190], v[142:143], v[177:178]
	v_fma_f64 v[140:141], v[120:121], v[130:131], 0
	v_fma_f64 v[162:163], v[114:115], v[130:131], 0
	;; [unrolled: 1-line block ×6, first 2 shown]
	v_add_f64 v[116:117], v[167:168], -v[136:137]
	v_fma_f64 v[181:182], v[128:129], v[130:131], 0
	v_add_f64 v[183:184], v[158:159], -v[140:141]
	global_load_dwordx4 v[134:137], v[156:157], off offset:144
	v_add_f64 v[162:163], v[160:161], -v[162:163]
	v_add_f64 v[185:186], v[169:170], -v[175:176]
	;; [unrolled: 1-line block ×4, first 2 shown]
	global_load_dwordx4 v[138:141], v[156:157], off offset:160
	global_load_dwordx4 v[158:161], v[156:157], off offset:176
	v_add_f64 v[144:145], v[144:145], -v[181:182]
	v_div_scale_f64 v[181:182], s[0:1], v[116:117], v[116:117], v[183:184]
	v_div_scale_f64 v[189:190], s[0:1], v[116:117], v[116:117], v[162:163]
	;; [unrolled: 1-line block ×6, first 2 shown]
	v_div_scale_f64 v[201:202], vcc, v[183:184], v[116:117], v[183:184]
	v_div_scale_f64 v[203:204], s[0:1], v[162:163], v[116:117], v[162:163]
	v_rcp_f64_e32 v[132:133], v[181:182]
	v_div_scale_f64 v[205:206], s[2:3], v[185:186], v[116:117], v[185:186]
	v_rcp_f64_e32 v[167:168], v[189:190]
	v_rcp_f64_e32 v[169:170], v[191:192]
	v_div_scale_f64 v[209:210], s[4:5], v[187:188], v[116:117], v[187:188]
	v_rcp_f64_e32 v[175:176], v[193:194]
	v_rcp_f64_e32 v[177:178], v[195:196]
	;; [unrolled: 1-line block ×3, first 2 shown]
	v_fma_f64 v[207:208], -v[181:182], v[132:133], 1.0
	v_fma_f64 v[211:212], -v[189:190], v[167:168], 1.0
	;; [unrolled: 1-line block ×5, first 2 shown]
	v_fma_f64 v[132:133], v[132:133], v[207:208], v[132:133]
	v_fma_f64 v[219:220], -v[197:198], v[199:200], 1.0
	v_fma_f64 v[211:212], v[167:168], v[211:212], v[167:168]
	v_fma_f64 v[213:214], v[169:170], v[213:214], v[169:170]
	v_div_scale_f64 v[207:208], s[6:7], v[179:180], v[116:117], v[179:180]
	v_fma_f64 v[215:216], v[175:176], v[215:216], v[175:176]
	v_fma_f64 v[217:218], v[177:178], v[217:218], v[177:178]
	v_fma_f64 v[167:168], -v[181:182], v[132:133], 1.0
	v_fma_f64 v[199:200], v[199:200], v[219:220], v[199:200]
	v_fma_f64 v[221:222], -v[189:190], v[211:212], 1.0
	v_fma_f64 v[223:224], -v[191:192], v[213:214], 1.0
	v_div_scale_f64 v[219:220], s[8:9], v[144:145], v[116:117], v[144:145]
	v_fma_f64 v[225:226], -v[193:194], v[215:216], 1.0
	v_fma_f64 v[227:228], -v[195:196], v[217:218], 1.0
	v_fma_f64 v[231:232], v[132:133], v[167:168], v[132:133]
	v_fma_f64 v[229:230], -v[197:198], v[199:200], 1.0
	v_fma_f64 v[211:212], v[211:212], v[221:222], v[211:212]
	v_fma_f64 v[213:214], v[213:214], v[223:224], v[213:214]
	s_waitcnt vmcnt(3)
	v_fma_f64 v[132:133], v[154:155], v[171:172], v[102:103]
	v_fma_f64 v[104:105], v[154:155], v[173:174], v[104:105]
	;; [unrolled: 1-line block ×4, first 2 shown]
	v_mul_f64 v[102:103], v[201:202], v[231:232]
	v_fma_f64 v[199:200], v[199:200], v[229:230], v[199:200]
	v_mul_f64 v[171:172], v[203:204], v[211:212]
	v_mul_f64 v[173:174], v[205:206], v[213:214]
	global_load_dwordx4 v[167:170], v[156:157], off offset:208
	global_load_dwordx4 v[175:178], v[156:157], off offset:192
	v_mul_f64 v[221:222], v[209:210], v[215:216]
	v_mul_f64 v[223:224], v[207:208], v[217:218]
	s_waitcnt vmcnt(4)
	v_fma_f64 v[227:228], v[154:155], v[134:135], v[94:95]
	v_mul_f64 v[225:226], v[219:220], v[199:200]
	v_fma_f64 v[94:95], -v[181:182], v[102:103], v[201:202]
	v_fma_f64 v[181:182], -v[189:190], v[171:172], v[203:204]
	;; [unrolled: 1-line block ×3, first 2 shown]
	v_fma_f64 v[134:135], v[118:119], v[132:133], 0
	v_fma_f64 v[191:192], -v[193:194], v[221:222], v[209:210]
	v_fma_f64 v[193:194], -v[195:196], v[223:224], v[207:208]
	s_waitcnt vmcnt(3)
	v_fma_f64 v[138:139], v[154:155], v[138:139], v[90:91]
	v_fma_f64 v[195:196], -v[197:198], v[225:226], v[219:220]
	v_div_fmas_f64 v[94:95], v[94:95], v[231:232], v[102:103]
	s_mov_b64 vcc, s[0:1]
	v_div_fmas_f64 v[102:103], v[181:182], v[211:212], v[171:172]
	s_mov_b64 vcc, s[2:3]
	;; [unrolled: 2-line block ×5, first 2 shown]
	v_div_fmas_f64 v[189:190], v[195:196], v[199:200], v[225:226]
	v_fma_f64 v[140:141], v[154:155], v[140:141], v[92:93]
	v_fma_f64 v[191:192], v[120:121], v[132:133], 0
	;; [unrolled: 1-line block ×3, first 2 shown]
	v_add_f64 v[134:135], v[104:105], -v[134:135]
	v_fma_f64 v[195:196], v[122:123], v[132:133], 0
	v_div_fixup_f64 v[90:91], v[94:95], v[116:117], v[183:184]
	v_fma_f64 v[136:137], v[154:155], v[136:137], v[96:97]
	v_div_fixup_f64 v[92:93], v[102:103], v[116:117], v[162:163]
	;; [unrolled: 2-line block ×5, first 2 shown]
	s_waitcnt vmcnt(2)
	v_fma_f64 v[88:89], v[154:155], v[160:161], v[88:89]
	v_div_fixup_f64 v[104:105], v[189:190], v[116:117], v[144:145]
	v_fma_f64 v[144:145], v[90:91], v[134:135], v[191:192]
	v_fma_f64 v[173:174], v[92:93], v[134:135], v[193:194]
	;; [unrolled: 1-line block ×7, first 2 shown]
	v_add_f64 v[86:87], v[227:228], -v[144:145]
	v_add_f64 v[144:145], v[136:137], -v[173:174]
	;; [unrolled: 1-line block ×4, first 2 shown]
	global_load_dwordx4 v[138:141], v[156:157], off offset:224
	v_add_f64 v[162:163], v[158:159], -v[162:163]
	global_load_dwordx4 v[158:161], v[156:157], off offset:240
	v_add_f64 v[187:188], v[88:89], -v[171:172]
	v_div_scale_f64 v[189:190], s[0:1], v[86:87], v[86:87], v[144:145]
	v_div_scale_f64 v[191:192], s[0:1], v[86:87], v[86:87], v[183:184]
	;; [unrolled: 1-line block ×8, first 2 shown]
	v_rcp_f64_e32 v[136:137], v[189:190]
	v_rcp_f64_e32 v[171:172], v[191:192]
	v_rcp_f64_e32 v[173:174], v[193:194]
	s_waitcnt vmcnt(3)
	v_fma_f64 v[74:75], v[154:155], v[167:168], v[74:75]
	v_rcp_f64_e32 v[179:180], v[195:196]
	s_waitcnt vmcnt(2)
	v_fma_f64 v[88:89], v[154:155], v[175:176], v[78:79]
	v_rcp_f64_e32 v[181:182], v[197:198]
	v_div_scale_f64 v[175:176], vcc, v[144:145], v[86:87], v[144:145]
	v_fma_f64 v[80:81], v[154:155], v[177:178], v[80:81]
	v_fma_f64 v[169:170], v[154:155], v[169:170], v[76:77]
	;; [unrolled: 1-line block ×3, first 2 shown]
	v_fma_f64 v[78:79], -v[189:190], v[136:137], 1.0
	v_fma_f64 v[199:200], -v[191:192], v[171:172], 1.0
	;; [unrolled: 1-line block ×5, first 2 shown]
	v_fma_f64 v[78:79], v[136:137], v[78:79], v[136:137]
	v_fma_f64 v[136:137], v[171:172], v[199:200], v[171:172]
	;; [unrolled: 1-line block ×5, first 2 shown]
	v_fma_f64 v[211:212], -v[189:190], v[78:79], 1.0
	v_fma_f64 v[215:216], -v[191:192], v[136:137], 1.0
	v_div_scale_f64 v[205:206], s[4:5], v[162:163], v[86:87], v[162:163]
	v_fma_f64 v[217:218], -v[193:194], v[199:200], 1.0
	v_fma_f64 v[219:220], -v[195:196], v[201:202], 1.0
	global_load_dwordx4 v[171:174], v[156:157], off offset:272
	global_load_dwordx4 v[179:182], v[156:157], off offset:256
	v_fma_f64 v[221:222], -v[197:198], v[203:204], 1.0
	v_fma_f64 v[78:79], v[78:79], v[211:212], v[78:79]
	v_fma_f64 v[177:178], v[136:137], v[215:216], v[136:137]
	;; [unrolled: 1-line block ×7, first 2 shown]
	v_mul_f64 v[167:168], v[175:176], v[78:79]
	v_mul_f64 v[215:216], v[207:208], v[177:178]
	v_add_f64 v[136:137], v[80:81], -v[136:137]
	v_fma_f64 v[221:222], v[114:115], v[88:89], 0
	v_mul_f64 v[80:81], v[209:210], v[199:200]
	v_mul_f64 v[217:218], v[205:206], v[201:202]
	;; [unrolled: 1-line block ×3, first 2 shown]
	v_fma_f64 v[175:176], -v[189:190], v[167:168], v[175:176]
	v_fma_f64 v[191:192], -v[191:192], v[215:216], v[207:208]
	v_fma_f64 v[189:190], v[122:123], v[88:89], 0
	v_fma_f64 v[207:208], v[90:91], v[136:137], v[211:212]
	v_fma_f64 v[193:194], -v[193:194], v[80:81], v[209:210]
	v_fma_f64 v[195:196], -v[195:196], v[217:218], v[205:206]
	s_waitcnt vmcnt(3)
	v_fma_f64 v[138:139], v[154:155], v[138:139], v[70:71]
	v_fma_f64 v[197:198], -v[197:198], v[219:220], v[213:214]
	v_div_fmas_f64 v[78:79], v[175:176], v[78:79], v[167:168]
	s_mov_b64 vcc, s[0:1]
	v_div_fmas_f64 v[167:168], v[191:192], v[177:178], v[215:216]
	s_mov_b64 vcc, s[2:3]
	;; [unrolled: 2-line block ×4, first 2 shown]
	v_div_fmas_f64 v[177:178], v[197:198], v[203:204], v[219:220]
	v_fma_f64 v[191:192], v[126:127], v[88:89], 0
	v_fma_f64 v[193:194], v[128:129], v[88:89], 0
	;; [unrolled: 1-line block ×4, first 2 shown]
	v_add_f64 v[197:198], v[74:75], -v[207:208]
	v_fma_f64 v[72:73], v[154:155], v[140:141], v[72:73]
	s_waitcnt vmcnt(2)
	v_fma_f64 v[66:67], v[154:155], v[158:159], v[66:67]
	v_div_fixup_f64 v[70:71], v[78:79], v[86:87], v[144:145]
	v_fma_f64 v[144:145], v[96:97], v[136:137], v[76:77]
	v_div_fixup_f64 v[74:75], v[167:168], v[86:87], v[183:184]
	v_fma_f64 v[167:168], v[102:103], v[136:137], v[191:192]
	v_div_fixup_f64 v[76:77], v[80:81], v[86:87], v[185:186]
	v_fma_f64 v[183:184], v[104:105], v[136:137], v[193:194]
	v_div_fixup_f64 v[78:79], v[175:176], v[86:87], v[162:163]
	v_fma_f64 v[68:69], v[154:155], v[160:161], v[68:69]
	v_div_fixup_f64 v[80:81], v[177:178], v[86:87], v[187:188]
	v_fma_f64 v[162:163], v[70:71], v[197:198], v[195:196]
	v_fma_f64 v[175:176], v[74:75], v[197:198], v[189:190]
	;; [unrolled: 1-line block ×5, first 2 shown]
	v_add_f64 v[162:163], v[169:170], -v[162:163]
	v_add_f64 v[175:176], v[138:139], -v[175:176]
	;; [unrolled: 1-line block ×3, first 2 shown]
	global_load_dwordx4 v[138:141], v[156:157], off offset:304
	v_add_f64 v[144:145], v[66:67], -v[144:145]
	v_add_f64 v[177:178], v[68:69], -v[158:159]
	global_load_dwordx4 v[66:69], v[156:157], off offset:288
	v_div_scale_f64 v[183:184], s[0:1], v[162:163], v[162:163], v[175:176]
	v_div_scale_f64 v[185:186], s[0:1], v[162:163], v[162:163], v[72:73]
	;; [unrolled: 1-line block ×5, first 2 shown]
	global_load_dwordx4 v[158:161], v[156:157], off offset:336
	global_load_dwordx4 v[167:170], v[156:157], off offset:320
	s_waitcnt vmcnt(5)
	v_fma_f64 v[58:59], v[154:155], v[171:172], v[58:59]
	s_waitcnt vmcnt(4)
	v_fma_f64 v[179:180], v[154:155], v[179:180], v[62:63]
	v_fma_f64 v[64:65], v[154:155], v[181:182], v[64:65]
	;; [unrolled: 1-line block ×3, first 2 shown]
	v_rcp_f64_e32 v[191:192], v[183:184]
	v_rcp_f64_e32 v[193:194], v[185:186]
	;; [unrolled: 1-line block ×3, first 2 shown]
	v_fma_f64 v[171:172], v[118:119], v[179:180], 0
	v_rcp_f64_e32 v[199:200], v[189:190]
	v_fma_f64 v[173:174], v[120:121], v[179:180], 0
	v_fma_f64 v[213:214], v[126:127], v[179:180], 0
	;; [unrolled: 1-line block ×3, first 2 shown]
	v_add_f64 v[171:172], v[64:65], -v[171:172]
	v_fma_f64 v[62:63], -v[183:184], v[191:192], 1.0
	v_fma_f64 v[181:182], -v[185:186], v[193:194], 1.0
	;; [unrolled: 1-line block ×3, first 2 shown]
	v_fma_f64 v[173:174], v[90:91], v[171:172], v[173:174]
	v_fma_f64 v[203:204], -v[189:190], v[199:200], 1.0
	v_fma_f64 v[62:63], v[191:192], v[62:63], v[191:192]
	v_div_scale_f64 v[191:192], vcc, v[175:176], v[162:163], v[175:176]
	v_fma_f64 v[181:182], v[193:194], v[181:182], v[193:194]
	v_fma_f64 v[195:196], v[195:196], v[201:202], v[195:196]
	v_div_scale_f64 v[193:194], s[0:1], v[72:73], v[162:163], v[72:73]
	v_fma_f64 v[199:200], v[199:200], v[203:204], v[199:200]
	v_fma_f64 v[201:202], -v[183:184], v[62:63], 1.0
	v_div_scale_f64 v[203:204], s[2:3], v[144:145], v[162:163], v[144:145]
	v_fma_f64 v[205:206], -v[185:186], v[181:182], 1.0
	v_fma_f64 v[209:210], -v[187:188], v[195:196], 1.0
	v_add_f64 v[173:174], v[58:59], -v[173:174]
	v_fma_f64 v[211:212], -v[189:190], v[199:200], 1.0
	v_fma_f64 v[62:63], v[62:63], v[201:202], v[62:63]
	v_fma_f64 v[201:202], v[114:115], v[179:180], 0
	;; [unrolled: 1-line block ×6, first 2 shown]
	v_mul_f64 v[205:206], v[191:192], v[62:63]
	v_fma_f64 v[199:200], v[122:123], v[179:180], 0
	v_mul_f64 v[211:212], v[193:194], v[181:182]
	v_mul_f64 v[215:216], v[203:204], v[64:65]
	;; [unrolled: 1-line block ×3, first 2 shown]
	v_fma_f64 v[183:184], -v[183:184], v[205:206], v[191:192]
	v_fma_f64 v[191:192], v[92:93], v[171:172], v[201:202]
	v_fma_f64 v[185:186], -v[185:186], v[211:212], v[193:194]
	v_fma_f64 v[58:59], -v[187:188], v[215:216], v[203:204]
	v_fma_f64 v[193:194], v[94:95], v[171:172], v[199:200]
	s_waitcnt vmcnt(3)
	v_fma_f64 v[50:51], v[154:155], v[138:139], v[50:51]
	v_fma_f64 v[187:188], -v[189:190], v[217:218], v[207:208]
	v_div_fmas_f64 v[183:184], v[183:184], v[62:63], v[205:206]
	s_mov_b64 vcc, s[0:1]
	s_waitcnt vmcnt(2)
	v_fma_f64 v[54:55], v[154:155], v[66:67], v[54:55]
	v_div_fmas_f64 v[181:182], v[185:186], v[181:182], v[211:212]
	s_mov_b64 vcc, s[2:3]
	v_div_fmas_f64 v[189:190], v[58:59], v[64:65], v[215:216]
	s_mov_b64 vcc, s[4:5]
	v_div_fmas_f64 v[187:188], v[187:188], v[195:196], v[217:218]
	v_fma_f64 v[185:186], v[96:97], v[171:172], v[209:210]
	v_fma_f64 v[58:59], v[70:71], v[173:174], v[191:192]
	v_fma_f64 v[191:192], v[102:103], v[171:172], v[213:214]
	v_fma_f64 v[195:196], v[104:105], v[171:172], v[219:220]
	v_fma_f64 v[193:194], v[74:75], v[173:174], v[193:194]
	global_load_dwordx4 v[62:65], v[156:157], off offset:352
	v_fma_f64 v[56:57], v[154:155], v[68:69], v[56:57]
	v_fma_f64 v[52:53], v[154:155], v[140:141], v[52:53]
	;; [unrolled: 1-line block ×3, first 2 shown]
	v_add_f64 v[199:200], v[60:61], -v[58:59]
	v_div_fixup_f64 v[58:59], v[183:184], v[162:163], v[175:176]
	v_div_fixup_f64 v[60:61], v[181:182], v[162:163], v[72:73]
	v_fma_f64 v[66:67], v[78:79], v[173:174], v[191:192]
	v_div_fixup_f64 v[72:73], v[189:190], v[162:163], v[144:145]
	v_fma_f64 v[144:145], v[80:81], v[173:174], v[195:196]
	v_div_fixup_f64 v[175:176], v[187:188], v[162:163], v[177:178]
	s_waitcnt vmcnt(1)
	v_fma_f64 v[167:168], v[154:155], v[167:168], v[46:47]
	v_fma_f64 v[48:49], v[154:155], v[169:170], v[48:49]
	;; [unrolled: 1-line block ×10, first 2 shown]
	v_add_f64 v[68:69], v[54:55], -v[68:69]
	v_add_f64 v[140:141], v[56:57], -v[177:178]
	v_fma_f64 v[158:159], v[114:115], v[167:168], 0
	v_add_f64 v[66:67], v[50:51], -v[66:67]
	v_fma_f64 v[207:208], v[128:129], v[167:168], 0
	v_add_f64 v[138:139], v[52:53], -v[138:139]
	global_load_dwordx4 v[50:53], v[156:157], off offset:368
	v_add_f64 v[169:170], v[48:49], -v[169:170]
	v_div_scale_f64 v[144:145], s[0:1], v[68:69], v[68:69], v[140:141]
	v_div_scale_f64 v[177:178], s[0:1], v[68:69], v[68:69], v[66:67]
	;; [unrolled: 1-line block ×3, first 2 shown]
	v_div_scale_f64 v[191:192], vcc, v[140:141], v[68:69], v[140:141]
	v_div_scale_f64 v[195:196], s[0:1], v[66:67], v[68:69], v[66:67]
	v_div_scale_f64 v[203:204], s[2:3], v[138:139], v[68:69], v[138:139]
	v_fma_f64 v[185:186], v[90:91], v[169:170], v[185:186]
	v_fma_f64 v[158:159], v[92:93], v[169:170], v[158:159]
	v_rcp_f64_e32 v[54:55], v[144:145]
	v_rcp_f64_e32 v[56:57], v[177:178]
	v_rcp_f64_e32 v[46:47], v[181:182]
	v_add_f64 v[42:43], v[42:43], -v[185:186]
	v_fma_f64 v[185:186], v[124:125], v[167:168], 0
	v_fma_f64 v[158:159], v[70:71], v[42:43], v[158:159]
	v_fma_f64 v[185:186], v[96:97], v[169:170], v[185:186]
	v_fma_f64 v[183:184], -v[144:145], v[54:55], 1.0
	v_fma_f64 v[187:188], -v[177:178], v[56:57], 1.0
	v_fma_f64 v[48:49], -v[181:182], v[46:47], 1.0
	v_add_f64 v[44:45], v[44:45], -v[158:159]
	v_fma_f64 v[158:159], v[104:105], v[169:170], v[207:208]
	v_fma_f64 v[183:184], v[54:55], v[183:184], v[54:55]
	;; [unrolled: 1-line block ×4, first 2 shown]
	global_load_dwordx4 v[46:49], v[156:157], off offset:400
	global_load_dwordx4 v[54:57], v[156:157], off offset:384
	v_fma_f64 v[158:159], v[80:81], v[42:43], v[158:159]
	v_fma_f64 v[193:194], -v[144:145], v[183:184], 1.0
	v_fma_f64 v[201:202], -v[177:178], v[187:188], 1.0
	s_waitcnt vmcnt(3)
	v_fma_f64 v[38:39], v[154:155], v[62:63], v[38:39]
	v_fma_f64 v[205:206], -v[181:182], v[189:190], 1.0
	v_fma_f64 v[64:65], v[154:155], v[64:65], v[40:41]
	v_fma_f64 v[183:184], v[183:184], v[193:194], v[183:184]
	;; [unrolled: 1-line block ×6, first 2 shown]
	v_mul_f64 v[62:63], v[191:192], v[183:184]
	v_mul_f64 v[193:194], v[195:196], v[160:161]
	v_fma_f64 v[187:188], v[94:95], v[169:170], v[187:188]
	v_mul_f64 v[205:206], v[203:204], v[189:190]
	v_fma_f64 v[144:145], -v[144:145], v[62:63], v[191:192]
	v_fma_f64 v[191:192], v[102:103], v[169:170], v[201:202]
	v_fma_f64 v[177:178], -v[177:178], v[193:194], v[195:196]
	v_fma_f64 v[187:188], v[74:75], v[42:43], v[187:188]
	v_fma_f64 v[181:182], -v[181:182], v[205:206], v[203:204]
	s_waitcnt vmcnt(2)
	v_fma_f64 v[34:35], v[154:155], v[50:51], v[34:35]
	v_fma_f64 v[36:37], v[154:155], v[52:53], v[36:37]
	v_div_fmas_f64 v[62:63], v[144:145], v[183:184], v[62:63]
	s_mov_b64 vcc, s[0:1]
	v_div_fmas_f64 v[144:145], v[177:178], v[160:161], v[193:194]
	s_mov_b64 vcc, s[2:3]
	v_div_fmas_f64 v[160:161], v[181:182], v[189:190], v[205:206]
	v_fma_f64 v[177:178], v[76:77], v[42:43], v[185:186]
	v_fma_f64 v[181:182], v[78:79], v[42:43], v[191:192]
	;; [unrolled: 1-line block ×5, first 2 shown]
	v_add_f64 v[183:184], v[38:39], -v[183:184]
	v_div_fixup_f64 v[62:63], v[62:63], v[68:69], v[140:141]
	v_fma_f64 v[140:141], v[175:176], v[44:45], v[158:159]
	v_div_fixup_f64 v[66:67], v[144:145], v[68:69], v[66:67]
	global_load_dwordx4 v[38:41], v[156:157], off offset:416
	v_div_fixup_f64 v[138:139], v[160:161], v[68:69], v[138:139]
	v_fma_f64 v[50:51], v[62:63], v[183:184], v[177:178]
	v_fma_f64 v[144:145], v[66:67], v[183:184], v[181:182]
	v_fma_f64 v[52:53], v[138:139], v[183:184], v[140:141]
	v_add_f64 v[50:51], v[64:65], -v[50:51]
	v_add_f64 v[34:35], v[34:35], -v[144:145]
	;; [unrolled: 1-line block ×3, first 2 shown]
	v_div_scale_f64 v[52:53], s[0:1], v[50:51], v[50:51], v[34:35]
	v_div_scale_f64 v[64:65], s[0:1], v[50:51], v[50:51], v[36:37]
	s_waitcnt vmcnt(1)
	v_fma_f64 v[54:55], v[154:155], v[54:55], v[30:31]
	v_fma_f64 v[56:57], v[154:155], v[56:57], v[32:33]
	global_load_dwordx4 v[30:33], v[156:157], off offset:432
	v_fma_f64 v[26:27], v[154:155], v[46:47], v[26:27]
	v_div_scale_f64 v[181:182], s[0:1], v[36:37], v[50:51], v[36:37]
	v_fma_f64 v[28:29], v[154:155], v[48:49], v[28:29]
	v_fma_f64 v[158:159], v[118:119], v[54:55], 0
	;; [unrolled: 1-line block ×5, first 2 shown]
	v_rcp_f64_e32 v[140:141], v[52:53]
	v_rcp_f64_e32 v[144:145], v[64:65]
	v_add_f64 v[56:57], v[56:57], -v[158:159]
	v_fma_f64 v[160:161], v[90:91], v[56:57], v[160:161]
	v_fma_f64 v[48:49], v[96:97], v[56:57], v[48:49]
	v_fma_f64 v[158:159], -v[52:53], v[140:141], 1.0
	v_fma_f64 v[46:47], -v[64:65], v[144:145], 1.0
	v_add_f64 v[26:27], v[26:27], -v[160:161]
	v_div_scale_f64 v[160:161], vcc, v[34:35], v[50:51], v[34:35]
	v_fma_f64 v[140:141], v[140:141], v[158:159], v[140:141]
	v_fma_f64 v[158:159], v[122:123], v[54:55], 0
	;; [unrolled: 1-line block ×5, first 2 shown]
	v_fma_f64 v[177:178], -v[52:53], v[140:141], 1.0
	v_fma_f64 v[158:159], v[94:95], v[56:57], v[158:159]
	v_fma_f64 v[185:186], -v[64:65], v[46:47], 1.0
	v_fma_f64 v[144:145], v[70:71], v[26:27], v[144:145]
	v_fma_f64 v[140:141], v[140:141], v[177:178], v[140:141]
	;; [unrolled: 1-line block ×4, first 2 shown]
	v_add_f64 v[28:29], v[28:29], -v[144:145]
	v_fma_f64 v[177:178], v[126:127], v[54:55], 0
	v_fma_f64 v[185:186], v[128:129], v[54:55], 0
	s_waitcnt vmcnt(1)
	v_fma_f64 v[22:23], v[154:155], v[38:39], v[22:23]
	v_fma_f64 v[24:25], v[154:155], v[40:41], v[24:25]
	v_mul_f64 v[144:145], v[160:161], v[140:141]
	v_mul_f64 v[38:39], v[181:182], v[46:47]
	v_fma_f64 v[158:159], v[58:59], v[28:29], v[158:159]
	v_fma_f64 v[177:178], v[102:103], v[56:57], v[177:178]
	;; [unrolled: 1-line block ×4, first 2 shown]
	v_fma_f64 v[52:53], -v[52:53], v[144:145], v[160:161]
	v_fma_f64 v[64:65], -v[64:65], v[38:39], v[181:182]
	v_add_f64 v[158:159], v[22:23], -v[158:159]
	v_fma_f64 v[160:161], v[78:79], v[26:27], v[177:178]
	v_fma_f64 v[177:178], v[80:81], v[26:27], v[185:186]
	v_div_fmas_f64 v[22:23], v[52:53], v[140:141], v[144:145]
	s_mov_b64 vcc, s[0:1]
	v_div_fmas_f64 v[38:39], v[64:65], v[46:47], v[38:39]
	v_fma_f64 v[48:49], v[62:63], v[158:159], v[48:49]
	v_fma_f64 v[40:41], v[72:73], v[28:29], v[160:161]
	;; [unrolled: 1-line block ×3, first 2 shown]
	s_waitcnt vmcnt(0)
	v_fma_f64 v[18:19], v[154:155], v[30:31], v[18:19]
	v_fma_f64 v[20:21], v[154:155], v[32:33], v[20:21]
	v_add_f64 v[48:49], v[24:25], -v[48:49]
	v_fma_f64 v[40:41], v[66:67], v[158:159], v[40:41]
	v_fma_f64 v[46:47], v[138:139], v[158:159], v[46:47]
	v_div_fixup_f64 v[34:35], v[22:23], v[50:51], v[34:35]
	v_div_fixup_f64 v[36:37], v[38:39], v[50:51], v[36:37]
	v_fma_f64 v[22:23], v[34:35], v[48:49], v[40:41]
	v_fma_f64 v[24:25], v[36:37], v[48:49], v[46:47]
	v_add_f64 v[38:39], v[18:19], -v[22:23]
	v_add_f64 v[40:41], v[20:21], -v[24:25]
	v_div_scale_f64 v[20:21], s[0:1], v[142:143], v[142:143], v[110:111]
	v_div_scale_f64 v[18:19], s[0:1], v[38:39], v[38:39], v[40:41]
	;; [unrolled: 1-line block ×3, first 2 shown]
	v_rcp_f64_e32 v[24:25], v[20:21]
	v_rcp_f64_e32 v[22:23], v[18:19]
	v_fma_f64 v[32:33], -v[20:21], v[24:25], 1.0
	v_fma_f64 v[30:31], -v[18:19], v[22:23], 1.0
	v_fma_f64 v[24:25], v[24:25], v[32:33], v[24:25]
	v_fma_f64 v[22:23], v[22:23], v[30:31], v[22:23]
	v_div_scale_f64 v[30:31], vcc, v[40:41], v[38:39], v[40:41]
	v_fma_f64 v[52:53], -v[20:21], v[24:25], 1.0
	v_fma_f64 v[32:33], -v[18:19], v[22:23], 1.0
	v_fma_f64 v[24:25], v[24:25], v[52:53], v[24:25]
	v_fma_f64 v[22:23], v[22:23], v[32:33], v[22:23]
	v_mul_f64 v[52:53], v[46:47], v[24:25]
	v_mul_f64 v[32:33], v[30:31], v[22:23]
	v_fma_f64 v[20:21], -v[20:21], v[52:53], v[46:47]
	v_fma_f64 v[18:19], -v[18:19], v[32:33], v[30:31]
	v_div_fmas_f64 v[46:47], v[18:19], v[22:23], v[32:33]
	s_mov_b64 vcc, s[0:1]
	v_div_fmas_f64 v[18:19], v[20:21], v[24:25], v[52:53]
	v_div_fixup_f64 v[52:53], v[18:19], v[142:143], v[110:111]
	v_fma_f64 v[18:19], v[130:131], v[52:53], 0
	v_fma_f64 v[32:33], v[167:168], v[52:53], 0
	v_fma_f64 v[54:55], v[54:55], v[52:53], 0
	v_add_f64 v[18:19], v[112:113], -v[18:19]
	v_div_scale_f64 v[20:21], s[0:1], v[116:117], v[116:117], v[18:19]
	v_rcp_f64_e32 v[22:23], v[20:21]
	v_fma_f64 v[24:25], -v[20:21], v[22:23], 1.0
	v_fma_f64 v[22:23], v[22:23], v[24:25], v[22:23]
	v_div_scale_f64 v[24:25], vcc, v[18:19], v[116:117], v[18:19]
	v_fma_f64 v[30:31], -v[20:21], v[22:23], 1.0
	v_fma_f64 v[22:23], v[22:23], v[30:31], v[22:23]
	v_mul_f64 v[30:31], v[24:25], v[22:23]
	v_fma_f64 v[20:21], -v[20:21], v[30:31], v[24:25]
	v_div_fmas_f64 v[20:21], v[20:21], v[22:23], v[30:31]
	v_fma_f64 v[22:23], v[132:133], v[52:53], 0
	v_div_fixup_f64 v[64:65], v[20:21], v[116:117], v[18:19]
	v_fma_f64 v[18:19], v[134:135], v[64:65], v[22:23]
	v_fma_f64 v[54:55], v[56:57], v[64:65], v[54:55]
	v_add_f64 v[18:19], v[106:107], -v[18:19]
	v_div_scale_f64 v[20:21], s[0:1], v[86:87], v[86:87], v[18:19]
	v_rcp_f64_e32 v[22:23], v[20:21]
	v_fma_f64 v[24:25], -v[20:21], v[22:23], 1.0
	v_fma_f64 v[22:23], v[22:23], v[24:25], v[22:23]
	v_div_scale_f64 v[24:25], vcc, v[18:19], v[86:87], v[18:19]
	v_fma_f64 v[30:31], -v[20:21], v[22:23], 1.0
	v_fma_f64 v[22:23], v[22:23], v[30:31], v[22:23]
	v_mul_f64 v[30:31], v[24:25], v[22:23]
	v_fma_f64 v[20:21], -v[20:21], v[30:31], v[24:25]
	v_div_fmas_f64 v[20:21], v[20:21], v[22:23], v[30:31]
	v_fma_f64 v[22:23], v[88:89], v[52:53], 0
	v_fma_f64 v[22:23], v[136:137], v[64:65], v[22:23]
	v_div_fixup_f64 v[86:87], v[20:21], v[86:87], v[18:19]
	v_fma_f64 v[18:19], v[197:198], v[86:87], v[22:23]
	v_fma_f64 v[26:27], v[26:27], v[86:87], v[54:55]
	v_add_f64 v[18:19], v[108:109], -v[18:19]
	v_div_scale_f64 v[20:21], s[0:1], v[162:163], v[162:163], v[18:19]
	v_rcp_f64_e32 v[22:23], v[20:21]
	v_fma_f64 v[24:25], -v[20:21], v[22:23], 1.0
	v_fma_f64 v[22:23], v[22:23], v[24:25], v[22:23]
	v_div_scale_f64 v[24:25], vcc, v[18:19], v[162:163], v[18:19]
	v_fma_f64 v[30:31], -v[20:21], v[22:23], 1.0
	v_fma_f64 v[22:23], v[22:23], v[30:31], v[22:23]
	v_mul_f64 v[30:31], v[24:25], v[22:23]
	v_fma_f64 v[20:21], -v[20:21], v[30:31], v[24:25]
	v_fma_f64 v[24:25], v[179:180], v[52:53], 0
	v_div_fmas_f64 v[20:21], v[20:21], v[22:23], v[30:31]
	v_fma_f64 v[22:23], v[171:172], v[64:65], v[24:25]
	v_fma_f64 v[22:23], v[173:174], v[86:87], v[22:23]
	v_div_fixup_f64 v[88:89], v[20:21], v[162:163], v[18:19]
	v_fma_f64 v[18:19], v[199:200], v[88:89], v[22:23]
	v_add_f64 v[18:19], v[98:99], -v[18:19]
	v_div_scale_f64 v[20:21], s[0:1], v[68:69], v[68:69], v[18:19]
	v_rcp_f64_e32 v[22:23], v[20:21]
	v_fma_f64 v[24:25], -v[20:21], v[22:23], 1.0
	v_fma_f64 v[22:23], v[22:23], v[24:25], v[22:23]
	v_div_scale_f64 v[24:25], vcc, v[18:19], v[68:69], v[18:19]
	v_fma_f64 v[30:31], -v[20:21], v[22:23], 1.0
	v_fma_f64 v[22:23], v[22:23], v[30:31], v[22:23]
	v_mul_f64 v[30:31], v[24:25], v[22:23]
	v_fma_f64 v[20:21], -v[20:21], v[30:31], v[24:25]
	v_fma_f64 v[24:25], v[169:170], v[64:65], v[32:33]
	v_div_fmas_f64 v[20:21], v[20:21], v[22:23], v[30:31]
	v_fma_f64 v[22:23], v[42:43], v[86:87], v[24:25]
	v_fma_f64 v[22:23], v[44:45], v[88:89], v[22:23]
	v_div_fixup_f64 v[42:43], v[20:21], v[68:69], v[18:19]
	v_fma_f64 v[18:19], v[183:184], v[42:43], v[22:23]
	v_add_f64 v[30:31], v[100:101], -v[18:19]
	global_load_dwordx4 v[18:21], v[156:157], off offset:448
	v_div_scale_f64 v[32:33], s[0:1], v[50:51], v[50:51], v[30:31]
	v_div_scale_f64 v[44:45], vcc, v[30:31], v[50:51], v[30:31]
	v_rcp_f64_e32 v[22:23], v[32:33]
	v_fma_f64 v[24:25], -v[32:33], v[22:23], 1.0
	v_fma_f64 v[22:23], v[22:23], v[24:25], v[22:23]
	v_fma_f64 v[24:25], -v[32:33], v[22:23], 1.0
	v_fma_f64 v[68:69], v[22:23], v[24:25], v[22:23]
	global_load_dwordx4 v[22:25], v[156:157], off offset:464
	v_mul_f64 v[98:99], v[44:45], v[68:69]
	v_fma_f64 v[32:33], -v[32:33], v[98:99], v[44:45]
	v_fma_f64 v[44:45], v[28:29], v[88:89], v[26:27]
	global_load_dwordx4 v[26:29], v[156:157], off offset:480
	s_waitcnt vmcnt(2)
	v_fma_f64 v[14:15], v[154:155], v[18:19], v[14:15]
	v_fma_f64 v[16:17], v[154:155], v[20:21], v[16:17]
	v_div_fmas_f64 v[32:33], v[32:33], v[68:69], v[98:99]
	v_fma_f64 v[44:45], v[158:159], v[42:43], v[44:45]
	v_fma_f64 v[20:21], v[118:119], v[14:15], 0
	v_fma_f64 v[54:55], v[122:123], v[14:15], 0
	v_add_f64 v[16:17], v[16:17], -v[20:21]
	v_div_fixup_f64 v[50:51], v[32:33], v[50:51], v[30:31]
	v_fma_f64 v[54:55], v[94:95], v[16:17], v[54:55]
	v_fma_f64 v[30:31], v[48:49], v[50:51], v[44:45]
	;; [unrolled: 1-line block ×3, first 2 shown]
	v_add_f64 v[44:45], v[82:83], -v[30:31]
	global_load_dwordx4 v[30:33], v[156:157], off offset:496
	v_fma_f64 v[48:49], v[90:91], v[16:17], v[48:49]
	v_div_scale_f64 v[18:19], s[0:1], v[38:39], v[38:39], v[44:45]
	v_rcp_f64_e32 v[20:21], v[18:19]
	s_waitcnt vmcnt(2)
	v_fma_f64 v[10:11], v[154:155], v[22:23], v[10:11]
	v_fma_f64 v[22:23], v[114:115], v[14:15], 0
	;; [unrolled: 1-line block ×4, first 2 shown]
	v_add_f64 v[10:11], v[10:11], -v[48:49]
	v_fma_f64 v[22:23], v[92:93], v[16:17], v[22:23]
	v_fma_f64 v[24:25], v[96:97], v[16:17], v[24:25]
	v_fma_f64 v[48:49], -v[18:19], v[20:21], 1.0
	v_fma_f64 v[54:55], v[74:75], v[10:11], v[54:55]
	v_fma_f64 v[22:23], v[70:71], v[10:11], v[22:23]
	s_waitcnt vmcnt(1)
	v_fma_f64 v[6:7], v[154:155], v[26:27], v[6:7]
	v_fma_f64 v[26:27], v[14:15], v[128:129], 0
	;; [unrolled: 1-line block ×6, first 2 shown]
	v_add_f64 v[12:13], v[12:13], -v[22:23]
	v_div_scale_f64 v[22:23], vcc, v[44:45], v[38:39], v[44:45]
	v_fma_f64 v[14:15], v[14:15], v[52:53], 0
	v_fma_f64 v[26:27], v[16:17], v[104:105], v[26:27]
	v_fma_f64 v[56:57], -v[18:19], v[20:21], 1.0
	v_fma_f64 v[48:49], v[102:103], v[16:17], v[48:49]
	v_fma_f64 v[54:55], v[58:59], v[12:13], v[54:55]
	;; [unrolled: 1-line block ×7, first 2 shown]
	v_add_f64 v[6:7], v[6:7], -v[54:55]
	v_fma_f64 v[10:11], v[10:11], v[86:87], v[14:15]
	v_mul_f64 v[16:17], v[22:23], v[20:21]
	v_fma_f64 v[28:29], v[72:73], v[12:13], v[48:49]
	v_fma_f64 v[24:25], v[62:63], v[6:7], v[24:25]
	;; [unrolled: 1-line block ×3, first 2 shown]
	v_fma_f64 v[14:15], -v[18:19], v[16:17], v[22:23]
	v_fma_f64 v[18:19], v[12:13], v[175:176], v[26:27]
	v_fma_f64 v[22:23], v[66:67], v[6:7], v[28:29]
	v_add_f64 v[8:9], v[8:9], -v[24:25]
	s_waitcnt vmcnt(0)
	v_fma_f64 v[2:3], v[154:155], v[30:31], v[2:3]
	v_fma_f64 v[4:5], v[154:155], v[32:33], v[4:5]
	v_div_fmas_f64 v[12:13], v[14:15], v[20:21], v[16:17]
	v_fma_f64 v[14:15], v[6:7], v[138:139], v[18:19]
	v_fma_f64 v[6:7], v[6:7], v[42:43], v[10:11]
	;; [unrolled: 1-line block ×3, first 2 shown]
	v_mov_b32_e32 v19, s56
	v_fma_f64 v[10:11], v[8:9], v[36:37], v[14:15]
	v_div_fixup_f64 v[14:15], v[46:47], v[38:39], v[40:41]
	v_add_f64 v[2:3], v[2:3], -v[16:17]
	v_fma_f64 v[6:7], v[8:9], v[50:51], v[6:7]
	v_div_fixup_f64 v[8:9], v[12:13], v[38:39], v[44:45]
	v_fma_f64 v[10:11], v[2:3], v[14:15], v[10:11]
	v_fma_f64 v[2:3], v[2:3], v[8:9], v[6:7]
	v_add_f64 v[4:5], v[4:5], -v[10:11]
	v_add_f64 v[2:3], v[84:85], -v[2:3]
	v_div_scale_f64 v[6:7], s[0:1], v[4:5], v[4:5], v[2:3]
	v_add_co_u32_e64 v18, s[0:1], s55, v152
	v_addc_co_u32_e64 v19, s[0:1], v19, v153, s[0:1]
	v_rcp_f64_e32 v[10:11], v[6:7]
	v_fma_f64 v[12:13], -v[6:7], v[10:11], 1.0
	v_fma_f64 v[10:11], v[10:11], v[12:13], v[10:11]
	v_div_scale_f64 v[12:13], vcc, v[2:3], v[4:5], v[2:3]
	v_fma_f64 v[16:17], -v[6:7], v[10:11], 1.0
	v_fma_f64 v[10:11], v[10:11], v[16:17], v[10:11]
	v_mul_f64 v[16:17], v[12:13], v[10:11]
	v_fma_f64 v[6:7], -v[6:7], v[16:17], v[12:13]
	v_div_fmas_f64 v[6:7], v[6:7], v[10:11], v[16:17]
	v_add_co_u32_e32 v150, vcc, 64, v150
	v_addc_co_u32_e32 v151, vcc, 0, v151, vcc
	v_cmp_le_i64_e32 vcc, s[34:35], v[150:151]
	s_or_b64 s[38:39], vcc, s[38:39]
	v_add_co_u32_e32 v148, vcc, 0x200, v148
	v_addc_co_u32_e32 v149, vcc, 0, v149, vcc
	v_div_fixup_f64 v[4:5], v[6:7], v[4:5], v[2:3]
	v_fma_f64 v[2:3], v[14:15], v[4:5], 0
	v_add_f64 v[2:3], v[8:9], -v[2:3]
	v_fma_f64 v[6:7], v[34:35], v[2:3], 0
	v_fma_f64 v[6:7], v[36:37], v[4:5], v[6:7]
	v_add_f64 v[8:9], v[50:51], -v[6:7]
	v_fma_f64 v[6:7], v[62:63], v[8:9], 0
	v_fma_f64 v[6:7], v[66:67], v[2:3], v[6:7]
	v_fma_f64 v[6:7], v[138:139], v[4:5], v[6:7]
	v_add_f64 v[6:7], v[42:43], -v[6:7]
	v_fma_f64 v[10:11], v[58:59], v[6:7], 0
	v_fma_f64 v[10:11], v[60:61], v[8:9], v[10:11]
	v_fma_f64 v[10:11], v[72:73], v[2:3], v[10:11]
	v_fma_f64 v[10:11], v[175:176], v[4:5], v[10:11]
	v_add_f64 v[12:13], v[88:89], -v[10:11]
	v_fma_f64 v[10:11], v[70:71], v[12:13], 0
	v_fma_f64 v[10:11], v[74:75], v[6:7], v[10:11]
	;; [unrolled: 1-line block ×5, first 2 shown]
	v_add_f64 v[10:11], v[86:87], -v[10:11]
	v_fma_f64 v[14:15], v[90:91], v[10:11], 0
	v_fma_f64 v[14:15], v[92:93], v[12:13], v[14:15]
	;; [unrolled: 1-line block ×6, first 2 shown]
	v_add_f64 v[16:17], v[64:65], -v[14:15]
	v_fma_f64 v[14:15], v[118:119], v[16:17], 0
	v_fma_f64 v[14:15], v[120:121], v[10:11], v[14:15]
	v_fma_f64 v[14:15], v[114:115], v[12:13], v[14:15]
	v_fma_f64 v[14:15], v[122:123], v[6:7], v[14:15]
	v_fma_f64 v[14:15], v[124:125], v[8:9], v[14:15]
	v_fma_f64 v[14:15], v[126:127], v[2:3], v[14:15]
	v_fma_f64 v[14:15], v[128:129], v[4:5], v[14:15]
	v_add_f64 v[14:15], v[52:53], -v[14:15]
	global_store_dwordx4 v[18:19], v[2:5], off offset:48
	global_store_dwordx4 v[18:19], v[6:9], off offset:32
	;; [unrolled: 1-line block ×3, first 2 shown]
	global_store_dwordx4 v[18:19], v[14:17], off
	s_andn2_b64 exec, exec, s[38:39]
	s_cbranch_execz .LBB0_6
.LBB0_10:                               ;   Parent Loop BB0_7 Depth=1
                                        ; =>  This Inner Loop Header: Depth=2
	global_load_dwordx2 v[154:155], v[148:149], off
	v_mov_b32_e32 v5, s50
	v_mov_b32_e32 v8, s52
	;; [unrolled: 1-line block ×3, first 2 shown]
	s_waitcnt vmcnt(0)
	v_mad_u64_u32 v[158:159], s[0:1], v154, 48, s[20:21]
	v_mul_lo_u32 v6, v155, 48
	v_lshlrev_b64 v[152:153], 6, v[154:155]
	v_lshlrev_b64 v[156:157], 9, v[154:155]
	v_add_co_u32_e32 v4, vcc, s48, v152
	v_add_u32_e32 v159, v6, v159
	global_load_dwordx2 v[2:3], v[158:159], off
	v_addc_co_u32_e32 v5, vcc, v5, v153, vcc
	v_add_co_u32_e32 v14, vcc, s51, v156
	v_addc_co_u32_e32 v15, vcc, v8, v157, vcc
	global_load_dwordx4 v[82:85], v[4:5], off offset:48
	global_load_dwordx4 v[98:101], v[4:5], off offset:32
	;; [unrolled: 1-line block ×3, first 2 shown]
	global_load_dwordx4 v[110:113], v[4:5], off
	global_load_dwordx4 v[130:133], v[14:15], off offset:48
	global_load_dwordx4 v[134:137], v[14:15], off offset:32
	;; [unrolled: 1-line block ×3, first 2 shown]
	global_load_dwordx4 v[142:145], v[14:15], off
	global_load_dwordx4 v[114:117], v[14:15], off offset:112
	global_load_dwordx4 v[118:121], v[14:15], off offset:96
	;; [unrolled: 1-line block ×7, first 2 shown]
                                        ; kill: killed $vgpr4 killed $vgpr5
	global_load_dwordx4 v[102:105], v[14:15], off offset:128
	global_load_dwordx4 v[66:69], v[14:15], off offset:240
	;; [unrolled: 1-line block ×17, first 2 shown]
	v_mad_u64_u32 v[160:161], s[0:1], v154, 48, s[18:19]
	v_add_u32_e32 v161, v6, v161
	global_load_dwordx2 v[167:168], v[160:161], off
	s_waitcnt vmcnt(33)
	v_lshlrev_b64 v[2:3], 3, v[2:3]
	v_add_co_u32_e32 v2, vcc, s22, v2
	v_addc_co_u32_e32 v3, vcc, v7, v3, vcc
	global_load_dwordx2 v[162:163], v[2:3], off
	s_nop 0
	global_load_dwordx4 v[2:5], v[14:15], off offset:496
	global_load_dwordx4 v[6:9], v[14:15], off offset:480
	;; [unrolled: 1-line block ×3, first 2 shown]
	s_nop 0
	global_load_dwordx4 v[14:17], v[14:15], off offset:448
	s_waitcnt vmcnt(5)
	v_cmp_ne_u64_e32 vcc, 0, v[167:168]
	s_waitcnt vmcnt(4)
	v_cmp_lt_i64_e64 s[0:1], -1, v[162:163]
	s_and_b64 s[0:1], s[0:1], vcc
	s_and_saveexec_b64 s[42:43], s[0:1]
	s_cbranch_execz .LBB0_12
; %bb.11:                               ;   in Loop: Header=BB0_10 Depth=2
	v_lshlrev_b64 v[175:176], 5, v[162:163]
	v_mov_b32_e32 v168, s25
	v_add_co_u32_e32 v167, vcc, s24, v175
	v_addc_co_u32_e32 v168, vcc, v168, v176, vcc
	global_load_dwordx2 v[167:168], v[167:168], off
	v_mov_b32_e32 v177, s26
	v_mov_b32_e32 v178, s24
	;; [unrolled: 1-line block ×5, first 2 shown]
	v_lshlrev_b64 v[162:163], 8, v[162:163]
	v_mov_b32_e32 v183, s15
	v_mov_b32_e32 v215, s54
	s_waitcnt vmcnt(0)
	v_ashrrev_i32_e32 v171, 31, v168
	v_lshrrev_b32_e32 v171, 29, v171
	v_add_co_u32_e32 v167, vcc, v167, v171
	v_addc_co_u32_e32 v168, vcc, 0, v168, vcc
	v_ashrrev_i64 v[167:168], 3, v[167:168]
	v_cmp_eq_u64_e32 vcc, v[154:155], v[167:168]
	v_cndmask_b32_e32 v168, v178, v177, vcc
	v_cndmask_b32_e32 v167, v170, v169, vcc
	v_add_co_u32_e64 v171, s[0:1], v168, v175
	v_addc_co_u32_e64 v172, s[0:1], v167, v176, s[0:1]
	v_cndmask_b32_e32 v180, v169, v170, vcc
	global_load_dwordx4 v[167:170], v[171:172], off
	s_nop 0
	global_load_dwordx4 v[171:174], v[171:172], off offset:16
	v_cndmask_b32_e32 v177, v177, v178, vcc
	v_cndmask_b32_e32 v178, 0, v166, vcc
	v_add_co_u32_e32 v179, vcc, v177, v175
	v_addc_co_u32_e32 v180, vcc, v180, v176, vcc
	v_add_co_u32_e32 v184, vcc, s40, v178
	v_addc_co_u32_e32 v185, vcc, 0, v181, vcc
	global_load_dwordx4 v[175:178], v[179:180], off offset:16
	s_nop 0
	global_load_dwordx4 v[179:182], v[179:180], off
	v_add_co_u32_e32 v162, vcc, v184, v162
	v_addc_co_u32_e32 v163, vcc, v185, v163, vcc
	v_add_co_u32_e32 v162, vcc, s14, v162
	v_addc_co_u32_e32 v163, vcc, v163, v183, vcc
	global_load_dwordx4 v[183:186], v[162:163], off
	global_load_dwordx4 v[187:190], v[162:163], off offset:16
	global_load_dwordx4 v[191:194], v[162:163], off offset:32
	;; [unrolled: 1-line block ×7, first 2 shown]
	s_waitcnt vmcnt(11)
	v_lshlrev_b64 v[162:163], 3, v[167:168]
	v_lshlrev_b64 v[167:168], 3, v[169:170]
	v_add_co_u32_e32 v162, vcc, s53, v162
	v_addc_co_u32_e32 v163, vcc, v215, v163, vcc
	global_load_dwordx2 v[162:163], v[162:163], off
	v_add_co_u32_e32 v167, vcc, s53, v167
	v_addc_co_u32_e32 v168, vcc, v215, v168, vcc
	global_load_dwordx2 v[167:168], v[167:168], off
	s_waitcnt vmcnt(12)
	v_lshlrev_b64 v[169:170], 3, v[171:172]
	v_lshlrev_b64 v[171:172], 3, v[173:174]
	v_add_co_u32_e32 v169, vcc, s53, v169
	v_addc_co_u32_e32 v170, vcc, v215, v170, vcc
	global_load_dwordx2 v[169:170], v[169:170], off
	v_add_co_u32_e32 v171, vcc, s53, v171
	v_addc_co_u32_e32 v172, vcc, v215, v172, vcc
	global_load_dwordx2 v[171:172], v[171:172], off
	s_waitcnt vmcnt(12)
	v_ashrrev_i32_e32 v173, 31, v180
	v_ashrrev_i32_e32 v174, 31, v182
	v_lshrrev_b32_e32 v217, 29, v173
	v_lshrrev_b32_e32 v218, 29, v174
	s_waitcnt vmcnt(11)
	v_mul_f64 v[173:174], v[146:147], v[183:184]
	v_mul_f64 v[183:184], v[146:147], v[185:186]
	v_add_co_u32_e32 v217, vcc, v179, v217
	v_addc_co_u32_e32 v219, vcc, 0, v180, vcc
	v_ashrrev_i32_e32 v215, 31, v176
	v_add_co_u32_e32 v218, vcc, v181, v218
	v_lshrrev_b32_e32 v215, 29, v215
	s_waitcnt vmcnt(10)
	v_mul_f64 v[185:186], v[146:147], v[187:188]
	v_addc_co_u32_e32 v220, vcc, 0, v182, vcc
	v_add_co_u32_e32 v215, vcc, v175, v215
	v_mul_f64 v[187:188], v[146:147], v[189:190]
	s_waitcnt vmcnt(9)
	v_mul_f64 v[189:190], v[146:147], v[191:192]
	v_mul_f64 v[191:192], v[146:147], v[193:194]
	s_waitcnt vmcnt(8)
	v_mul_f64 v[193:194], v[146:147], v[195:196]
	;; [unrolled: 3-line block ×4, first 2 shown]
	v_mul_f64 v[203:204], v[146:147], v[205:206]
	v_addc_co_u32_e32 v221, vcc, 0, v176, vcc
	s_waitcnt vmcnt(4)
	v_mul_f64 v[205:206], v[146:147], v[211:212]
	v_mul_f64 v[211:212], v[146:147], v[213:214]
	v_and_b32_e32 v213, -8, v217
	v_sub_co_u32_e32 v179, vcc, v179, v213
	v_subb_co_u32_e32 v180, vcc, v180, v219, vcc
	v_cmp_eq_u64_e32 vcc, 1, v[179:180]
	v_cmp_eq_u64_e64 s[0:1], 2, v[179:180]
	v_cndmask_b32_e32 v213, v111, v113, vcc
	v_cmp_eq_u64_e64 s[2:3], 3, v[179:180]
	v_cndmask_b32_e64 v213, v213, v107, s[0:1]
	v_cmp_eq_u64_e64 s[4:5], 4, v[179:180]
	v_cmp_eq_u64_e64 s[6:7], 5, v[179:180]
	v_cmp_eq_u64_e64 s[8:9], 6, v[179:180]
	v_cmp_eq_u64_e64 s[10:11], 7, v[179:180]
	v_and_b32_e32 v214, -8, v218
	v_sub_co_u32_e64 v181, s[12:13], v181, v214
	v_subb_co_u32_e64 v182, s[12:13], v182, v220, s[12:13]
	v_cmp_eq_u64_e64 s[12:13], 0, v[179:180]
	v_mul_f64 v[207:208], v[146:147], v[207:208]
	v_ashrrev_i32_e32 v216, 31, v178
	v_lshrrev_b32_e32 v216, 29, v216
	v_mul_f64 v[209:210], v[146:147], v[209:210]
	s_waitcnt vmcnt(3)
	v_fma_f64 v[173:174], v[173:174], v[162:163], 0
	s_waitcnt vmcnt(2)
	v_fma_f64 v[173:174], v[183:184], v[167:168], v[173:174]
	v_cndmask_b32_e64 v183, v213, v109, s[2:3]
	v_cndmask_b32_e32 v184, v110, v112, vcc
	v_cndmask_b32_e64 v213, v183, v99, s[4:5]
	v_cndmask_b32_e64 v217, v184, v106, s[0:1]
	v_fma_f64 v[183:184], v[189:190], v[162:163], 0
	s_waitcnt vmcnt(1)
	v_fma_f64 v[173:174], v[185:186], v[169:170], v[173:174]
	v_cndmask_b32_e64 v185, v213, v101, s[6:7]
	v_cndmask_b32_e64 v186, v217, v108, s[2:3]
	;; [unrolled: 1-line block ×4, first 2 shown]
	v_fma_f64 v[185:186], v[197:198], v[162:163], 0
	v_fma_f64 v[183:184], v[191:192], v[167:168], v[183:184]
	;; [unrolled: 1-line block ×3, first 2 shown]
	s_waitcnt vmcnt(0)
	v_fma_f64 v[173:174], v[187:188], v[171:172], v[173:174]
	v_cndmask_b32_e64 v187, v190, v100, s[6:7]
	v_cndmask_b32_e64 v187, v187, v82, s[8:9]
	;; [unrolled: 1-line block ×4, first 2 shown]
	v_fma_f64 v[185:186], v[199:200], v[167:168], v[185:186]
	v_fma_f64 v[183:184], v[193:194], v[169:170], v[183:184]
	;; [unrolled: 1-line block ×3, first 2 shown]
	v_add_f64 v[173:174], v[187:188], -v[173:174]
	v_fma_f64 v[167:168], v[201:202], v[169:170], v[185:186]
	v_fma_f64 v[183:184], v[195:196], v[171:172], v[183:184]
	v_cndmask_b32_e32 v112, v112, v173, vcc
	v_cndmask_b32_e32 v113, v113, v174, vcc
	v_cmp_eq_u64_e32 vcc, 1, v[181:182]
	v_cndmask_b32_e64 v106, v106, v173, s[0:1]
	v_cndmask_b32_e64 v107, v107, v174, s[0:1]
	;; [unrolled: 1-line block ×3, first 2 shown]
	v_cmp_eq_u64_e64 s[0:1], 2, v[181:182]
	v_cndmask_b32_e64 v186, v82, v173, s[8:9]
	v_cndmask_b32_e64 v108, v108, v173, s[2:3]
	;; [unrolled: 1-line block ×4, first 2 shown]
	v_cndmask_b32_e32 v82, v111, v113, vcc
	v_cmp_eq_u64_e64 s[2:3], 3, v[181:182]
	v_cndmask_b32_e64 v188, v98, v173, s[4:5]
	v_cndmask_b32_e64 v179, v83, v174, s[8:9]
	;; [unrolled: 1-line block ×4, first 2 shown]
	v_cndmask_b32_e32 v83, v110, v112, vcc
	v_cmp_eq_u64_e64 s[4:5], 4, v[181:182]
	v_cndmask_b32_e64 v187, v100, v173, s[6:7]
	v_cndmask_b32_e64 v180, v101, v174, s[6:7]
	;; [unrolled: 1-line block ×4, first 2 shown]
	v_cmp_eq_u64_e64 s[6:7], 5, v[181:182]
	v_cndmask_b32_e64 v82, v82, v189, s[4:5]
	v_cndmask_b32_e64 v83, v83, v108, s[2:3]
	v_cmp_eq_u64_e64 s[8:9], 6, v[181:182]
	v_cndmask_b32_e64 v185, v84, v173, s[10:11]
	v_cndmask_b32_e64 v173, v85, v174, s[10:11]
	;; [unrolled: 1-line block ×4, first 2 shown]
	v_cmp_eq_u64_e64 s[10:11], 7, v[181:182]
	v_cndmask_b32_e64 v82, v82, v179, s[8:9]
	v_cndmask_b32_e64 v84, v83, v187, s[6:7]
	;; [unrolled: 1-line block ×5, first 2 shown]
	v_add_f64 v[82:83], v[82:83], -v[183:184]
	v_and_b32_e32 v84, -8, v215
	v_sub_co_u32_e64 v84, s[12:13], v175, v84
	v_subb_co_u32_e64 v85, s[12:13], v176, v221, s[12:13]
	v_cmp_eq_u64_e64 s[12:13], 0, v[181:182]
	v_fma_f64 v[98:99], v[207:208], v[169:170], v[162:163]
	v_cndmask_b32_e32 v112, v112, v82, vcc
	v_cndmask_b32_e32 v113, v113, v83, vcc
	v_cmp_eq_u64_e32 vcc, 1, v[84:85]
	v_cndmask_b32_e64 v106, v106, v82, s[0:1]
	v_cndmask_b32_e64 v107, v107, v83, s[0:1]
	;; [unrolled: 1-line block ×3, first 2 shown]
	v_cmp_eq_u64_e64 s[0:1], 2, v[84:85]
	v_fma_f64 v[100:101], v[203:204], v[171:172], v[167:168]
	v_cndmask_b32_e64 v162, v185, v82, s[10:11]
	v_cndmask_b32_e64 v163, v186, v82, s[8:9]
	;; [unrolled: 1-line block ×7, first 2 shown]
	v_cndmask_b32_e32 v82, v176, v113, vcc
	v_cmp_eq_u64_e64 s[2:3], 3, v[84:85]
	v_cndmask_b32_e64 v170, v173, v83, s[10:11]
	v_cndmask_b32_e64 v173, v179, v83, s[8:9]
	;; [unrolled: 1-line block ×5, first 2 shown]
	v_cndmask_b32_e32 v83, v169, v112, vcc
	v_cmp_eq_u64_e64 s[4:5], 4, v[84:85]
	v_cndmask_b32_e64 v82, v82, v109, s[2:3]
	v_cndmask_b32_e64 v83, v83, v106, s[0:1]
	v_cmp_eq_u64_e64 s[6:7], 5, v[84:85]
	v_cndmask_b32_e64 v82, v82, v175, s[4:5]
	v_cndmask_b32_e64 v83, v83, v108, s[2:3]
	;; [unrolled: 3-line block ×4, first 2 shown]
	v_cndmask_b32_e64 v83, v82, v170, s[10:11]
	v_cndmask_b32_e64 v82, v110, v163, s[8:9]
	;; [unrolled: 1-line block ×3, first 2 shown]
	v_add_f64 v[82:83], v[82:83], -v[100:101]
	v_add_co_u32_e64 v100, s[12:13], v177, v216
	v_addc_co_u32_e64 v101, s[12:13], 0, v178, s[12:13]
	v_and_b32_e32 v100, -8, v100
	v_sub_co_u32_e64 v110, s[12:13], v177, v100
	v_subb_co_u32_e64 v111, s[12:13], v178, v101, s[12:13]
	v_cmp_eq_u64_e64 s[12:13], 0, v[84:85]
	v_cndmask_b32_e32 v112, v112, v82, vcc
	v_cndmask_b32_e32 v113, v113, v83, vcc
	v_cmp_eq_u64_e32 vcc, 1, v[110:111]
	v_cndmask_b32_e64 v106, v106, v82, s[0:1]
	v_cndmask_b32_e64 v84, v170, v83, s[10:11]
	;; [unrolled: 1-line block ×5, first 2 shown]
	v_cmp_eq_u64_e64 s[0:1], 2, v[110:111]
	v_fma_f64 v[98:99], v[209:210], v[171:172], v[98:99]
	v_cndmask_b32_e64 v100, v162, v82, s[10:11]
	v_cndmask_b32_e64 v101, v163, v82, s[8:9]
	;; [unrolled: 1-line block ×7, first 2 shown]
	v_cndmask_b32_e32 v82, v173, v113, vcc
	v_cmp_eq_u64_e64 s[2:3], 3, v[110:111]
	v_cndmask_b32_e64 v171, v174, v83, s[6:7]
	v_cndmask_b32_e64 v172, v175, v83, s[4:5]
	;; [unrolled: 1-line block ×3, first 2 shown]
	v_cndmask_b32_e32 v83, v169, v112, vcc
	v_cmp_eq_u64_e64 s[4:5], 4, v[110:111]
	v_cndmask_b32_e64 v82, v82, v109, s[2:3]
	v_cndmask_b32_e64 v83, v83, v106, s[0:1]
	v_cmp_eq_u64_e64 s[6:7], 5, v[110:111]
	v_cndmask_b32_e64 v82, v82, v172, s[4:5]
	v_cndmask_b32_e64 v83, v83, v108, s[2:3]
	;; [unrolled: 3-line block ×4, first 2 shown]
	v_cndmask_b32_e64 v83, v82, v84, s[10:11]
	v_cndmask_b32_e64 v82, v85, v101, s[8:9]
	;; [unrolled: 1-line block ×3, first 2 shown]
	v_add_f64 v[162:163], v[82:83], -v[98:99]
	v_cndmask_b32_e32 v113, v113, v163, vcc
	v_cndmask_b32_e32 v112, v112, v162, vcc
	v_cmp_eq_u64_e32 vcc, 0, v[110:111]
	v_cndmask_b32_e64 v85, v84, v163, s[10:11]
	v_cndmask_b32_e64 v84, v100, v162, s[10:11]
	;; [unrolled: 1-line block ×12, first 2 shown]
	v_cndmask_b32_e32 v111, v173, v163, vcc
	v_cndmask_b32_e32 v110, v169, v162, vcc
.LBB0_12:                               ;   in Loop: Header=BB0_10 Depth=2
	s_or_b64 exec, exec, s[42:43]
	global_load_dwordx2 v[162:163], v[158:159], off offset:8
	v_mov_b32_e32 v167, s23
	s_waitcnt vmcnt(0)
	v_lshlrev_b64 v[162:163], 3, v[162:163]
	v_add_co_u32_e32 v162, vcc, s22, v162
	v_addc_co_u32_e32 v163, vcc, v167, v163, vcc
	global_load_dwordx2 v[167:168], v[160:161], off offset:8
	s_nop 0
	global_load_dwordx2 v[162:163], v[162:163], off
	s_waitcnt vmcnt(1)
	v_cmp_ne_u64_e32 vcc, 0, v[167:168]
	s_waitcnt vmcnt(0)
	v_cmp_lt_i64_e64 s[0:1], -1, v[162:163]
	s_and_b64 s[0:1], s[0:1], vcc
	s_and_saveexec_b64 s[42:43], s[0:1]
	s_cbranch_execz .LBB0_14
; %bb.13:                               ;   in Loop: Header=BB0_10 Depth=2
	v_lshlrev_b64 v[175:176], 5, v[162:163]
	v_mov_b32_e32 v168, s25
	v_add_co_u32_e32 v167, vcc, s24, v175
	v_addc_co_u32_e32 v168, vcc, v168, v176, vcc
	global_load_dwordx2 v[167:168], v[167:168], off
	v_mov_b32_e32 v177, s26
	v_mov_b32_e32 v178, s24
	;; [unrolled: 1-line block ×5, first 2 shown]
	v_lshlrev_b64 v[162:163], 8, v[162:163]
	v_mov_b32_e32 v183, s15
	v_mov_b32_e32 v215, s54
	s_waitcnt vmcnt(0)
	v_ashrrev_i32_e32 v171, 31, v168
	v_lshrrev_b32_e32 v171, 29, v171
	v_add_co_u32_e32 v167, vcc, v167, v171
	v_addc_co_u32_e32 v168, vcc, 0, v168, vcc
	v_ashrrev_i64 v[167:168], 3, v[167:168]
	v_cmp_eq_u64_e32 vcc, v[154:155], v[167:168]
	v_cndmask_b32_e32 v168, v178, v177, vcc
	v_cndmask_b32_e32 v167, v170, v169, vcc
	v_add_co_u32_e64 v171, s[0:1], v168, v175
	v_addc_co_u32_e64 v172, s[0:1], v167, v176, s[0:1]
	v_cndmask_b32_e32 v180, v169, v170, vcc
	global_load_dwordx4 v[167:170], v[171:172], off
	s_nop 0
	global_load_dwordx4 v[171:174], v[171:172], off offset:16
	v_cndmask_b32_e32 v177, v177, v178, vcc
	v_cndmask_b32_e32 v178, 0, v166, vcc
	v_add_co_u32_e32 v179, vcc, v177, v175
	v_addc_co_u32_e32 v180, vcc, v180, v176, vcc
	v_add_co_u32_e32 v184, vcc, s40, v178
	v_addc_co_u32_e32 v185, vcc, 0, v181, vcc
	global_load_dwordx4 v[175:178], v[179:180], off offset:16
	s_nop 0
	global_load_dwordx4 v[179:182], v[179:180], off
	v_add_co_u32_e32 v162, vcc, v184, v162
	v_addc_co_u32_e32 v163, vcc, v185, v163, vcc
	v_add_co_u32_e32 v162, vcc, s14, v162
	v_addc_co_u32_e32 v163, vcc, v163, v183, vcc
	global_load_dwordx4 v[183:186], v[162:163], off
	global_load_dwordx4 v[187:190], v[162:163], off offset:16
	global_load_dwordx4 v[191:194], v[162:163], off offset:32
	;; [unrolled: 1-line block ×7, first 2 shown]
	s_waitcnt vmcnt(11)
	v_lshlrev_b64 v[162:163], 3, v[167:168]
	v_lshlrev_b64 v[167:168], 3, v[169:170]
	v_add_co_u32_e32 v162, vcc, s53, v162
	v_addc_co_u32_e32 v163, vcc, v215, v163, vcc
	global_load_dwordx2 v[162:163], v[162:163], off
	v_add_co_u32_e32 v167, vcc, s53, v167
	v_addc_co_u32_e32 v168, vcc, v215, v168, vcc
	global_load_dwordx2 v[167:168], v[167:168], off
	s_waitcnt vmcnt(12)
	v_lshlrev_b64 v[169:170], 3, v[171:172]
	v_lshlrev_b64 v[171:172], 3, v[173:174]
	v_add_co_u32_e32 v169, vcc, s53, v169
	v_addc_co_u32_e32 v170, vcc, v215, v170, vcc
	global_load_dwordx2 v[169:170], v[169:170], off
	v_add_co_u32_e32 v171, vcc, s53, v171
	v_addc_co_u32_e32 v172, vcc, v215, v172, vcc
	global_load_dwordx2 v[171:172], v[171:172], off
	s_waitcnt vmcnt(12)
	v_ashrrev_i32_e32 v173, 31, v180
	v_ashrrev_i32_e32 v174, 31, v182
	v_lshrrev_b32_e32 v217, 29, v173
	v_lshrrev_b32_e32 v218, 29, v174
	s_waitcnt vmcnt(11)
	v_mul_f64 v[173:174], v[146:147], v[183:184]
	v_mul_f64 v[183:184], v[146:147], v[185:186]
	v_add_co_u32_e32 v217, vcc, v179, v217
	v_addc_co_u32_e32 v219, vcc, 0, v180, vcc
	v_ashrrev_i32_e32 v215, 31, v176
	v_add_co_u32_e32 v218, vcc, v181, v218
	v_lshrrev_b32_e32 v215, 29, v215
	s_waitcnt vmcnt(10)
	v_mul_f64 v[185:186], v[146:147], v[187:188]
	v_addc_co_u32_e32 v220, vcc, 0, v182, vcc
	v_add_co_u32_e32 v215, vcc, v175, v215
	v_mul_f64 v[187:188], v[146:147], v[189:190]
	s_waitcnt vmcnt(9)
	v_mul_f64 v[189:190], v[146:147], v[191:192]
	v_mul_f64 v[191:192], v[146:147], v[193:194]
	s_waitcnt vmcnt(8)
	v_mul_f64 v[193:194], v[146:147], v[195:196]
	;; [unrolled: 3-line block ×4, first 2 shown]
	v_mul_f64 v[203:204], v[146:147], v[205:206]
	v_addc_co_u32_e32 v221, vcc, 0, v176, vcc
	s_waitcnt vmcnt(4)
	v_mul_f64 v[205:206], v[146:147], v[211:212]
	v_mul_f64 v[211:212], v[146:147], v[213:214]
	v_and_b32_e32 v213, -8, v217
	v_sub_co_u32_e32 v179, vcc, v179, v213
	v_subb_co_u32_e32 v180, vcc, v180, v219, vcc
	v_cmp_eq_u64_e32 vcc, 1, v[179:180]
	v_cmp_eq_u64_e64 s[0:1], 2, v[179:180]
	v_cndmask_b32_e32 v213, v111, v113, vcc
	v_cmp_eq_u64_e64 s[2:3], 3, v[179:180]
	v_cndmask_b32_e64 v213, v213, v107, s[0:1]
	v_cmp_eq_u64_e64 s[4:5], 4, v[179:180]
	v_cmp_eq_u64_e64 s[6:7], 5, v[179:180]
	;; [unrolled: 1-line block ×4, first 2 shown]
	v_and_b32_e32 v214, -8, v218
	v_sub_co_u32_e64 v181, s[12:13], v181, v214
	v_subb_co_u32_e64 v182, s[12:13], v182, v220, s[12:13]
	v_cmp_eq_u64_e64 s[12:13], 0, v[179:180]
	v_mul_f64 v[207:208], v[146:147], v[207:208]
	v_ashrrev_i32_e32 v216, 31, v178
	v_lshrrev_b32_e32 v216, 29, v216
	v_mul_f64 v[209:210], v[146:147], v[209:210]
	s_waitcnt vmcnt(3)
	v_fma_f64 v[173:174], v[173:174], v[162:163], 0
	s_waitcnt vmcnt(2)
	v_fma_f64 v[173:174], v[183:184], v[167:168], v[173:174]
	v_cndmask_b32_e64 v183, v213, v109, s[2:3]
	v_cndmask_b32_e32 v184, v110, v112, vcc
	v_cndmask_b32_e64 v213, v183, v99, s[4:5]
	v_cndmask_b32_e64 v217, v184, v106, s[0:1]
	v_fma_f64 v[183:184], v[189:190], v[162:163], 0
	s_waitcnt vmcnt(1)
	v_fma_f64 v[173:174], v[185:186], v[169:170], v[173:174]
	v_cndmask_b32_e64 v185, v213, v101, s[6:7]
	v_cndmask_b32_e64 v186, v217, v108, s[2:3]
	;; [unrolled: 1-line block ×4, first 2 shown]
	v_fma_f64 v[185:186], v[197:198], v[162:163], 0
	v_fma_f64 v[183:184], v[191:192], v[167:168], v[183:184]
	;; [unrolled: 1-line block ×3, first 2 shown]
	s_waitcnt vmcnt(0)
	v_fma_f64 v[173:174], v[187:188], v[171:172], v[173:174]
	v_cndmask_b32_e64 v187, v190, v100, s[6:7]
	v_cndmask_b32_e64 v187, v187, v82, s[8:9]
	v_cndmask_b32_e64 v188, v189, v85, s[10:11]
	v_cndmask_b32_e64 v187, v187, v84, s[10:11]
	v_fma_f64 v[185:186], v[199:200], v[167:168], v[185:186]
	v_fma_f64 v[183:184], v[193:194], v[169:170], v[183:184]
	;; [unrolled: 1-line block ×3, first 2 shown]
	v_add_f64 v[173:174], v[187:188], -v[173:174]
	v_fma_f64 v[167:168], v[201:202], v[169:170], v[185:186]
	v_fma_f64 v[183:184], v[195:196], v[171:172], v[183:184]
	v_cndmask_b32_e32 v112, v112, v173, vcc
	v_cndmask_b32_e32 v113, v113, v174, vcc
	v_cmp_eq_u64_e32 vcc, 1, v[181:182]
	v_cndmask_b32_e64 v106, v106, v173, s[0:1]
	v_cndmask_b32_e64 v107, v107, v174, s[0:1]
	;; [unrolled: 1-line block ×3, first 2 shown]
	v_cmp_eq_u64_e64 s[0:1], 2, v[181:182]
	v_cndmask_b32_e64 v186, v82, v173, s[8:9]
	v_cndmask_b32_e64 v108, v108, v173, s[2:3]
	;; [unrolled: 1-line block ×4, first 2 shown]
	v_cndmask_b32_e32 v82, v111, v113, vcc
	v_cmp_eq_u64_e64 s[2:3], 3, v[181:182]
	v_cndmask_b32_e64 v188, v98, v173, s[4:5]
	v_cndmask_b32_e64 v179, v83, v174, s[8:9]
	;; [unrolled: 1-line block ×4, first 2 shown]
	v_cndmask_b32_e32 v83, v110, v112, vcc
	v_cmp_eq_u64_e64 s[4:5], 4, v[181:182]
	v_cndmask_b32_e64 v187, v100, v173, s[6:7]
	v_cndmask_b32_e64 v180, v101, v174, s[6:7]
	v_cndmask_b32_e64 v82, v82, v109, s[2:3]
	v_cndmask_b32_e64 v83, v83, v106, s[0:1]
	v_cmp_eq_u64_e64 s[6:7], 5, v[181:182]
	v_cndmask_b32_e64 v82, v82, v189, s[4:5]
	v_cndmask_b32_e64 v83, v83, v108, s[2:3]
	v_cmp_eq_u64_e64 s[8:9], 6, v[181:182]
	v_cndmask_b32_e64 v185, v84, v173, s[10:11]
	v_cndmask_b32_e64 v173, v85, v174, s[10:11]
	;; [unrolled: 1-line block ×4, first 2 shown]
	v_cmp_eq_u64_e64 s[10:11], 7, v[181:182]
	v_cndmask_b32_e64 v82, v82, v179, s[8:9]
	v_cndmask_b32_e64 v84, v83, v187, s[6:7]
	v_cndmask_b32_e64 v83, v82, v173, s[10:11]
	v_cndmask_b32_e64 v82, v84, v186, s[8:9]
	v_cndmask_b32_e64 v82, v82, v185, s[10:11]
	v_add_f64 v[82:83], v[82:83], -v[183:184]
	v_and_b32_e32 v84, -8, v215
	v_sub_co_u32_e64 v84, s[12:13], v175, v84
	v_subb_co_u32_e64 v85, s[12:13], v176, v221, s[12:13]
	v_cmp_eq_u64_e64 s[12:13], 0, v[181:182]
	v_fma_f64 v[98:99], v[207:208], v[169:170], v[162:163]
	v_cndmask_b32_e32 v112, v112, v82, vcc
	v_cndmask_b32_e32 v113, v113, v83, vcc
	v_cmp_eq_u64_e32 vcc, 1, v[84:85]
	v_cndmask_b32_e64 v106, v106, v82, s[0:1]
	v_cndmask_b32_e64 v107, v107, v83, s[0:1]
	v_cndmask_b32_e64 v176, v111, v83, s[12:13]
	v_cmp_eq_u64_e64 s[0:1], 2, v[84:85]
	v_fma_f64 v[100:101], v[203:204], v[171:172], v[167:168]
	v_cndmask_b32_e64 v162, v185, v82, s[10:11]
	v_cndmask_b32_e64 v163, v186, v82, s[8:9]
	;; [unrolled: 1-line block ×7, first 2 shown]
	v_cndmask_b32_e32 v82, v176, v113, vcc
	v_cmp_eq_u64_e64 s[2:3], 3, v[84:85]
	v_cndmask_b32_e64 v170, v173, v83, s[10:11]
	v_cndmask_b32_e64 v173, v179, v83, s[8:9]
	;; [unrolled: 1-line block ×5, first 2 shown]
	v_cndmask_b32_e32 v83, v169, v112, vcc
	v_cmp_eq_u64_e64 s[4:5], 4, v[84:85]
	v_cndmask_b32_e64 v82, v82, v109, s[2:3]
	v_cndmask_b32_e64 v83, v83, v106, s[0:1]
	v_cmp_eq_u64_e64 s[6:7], 5, v[84:85]
	v_cndmask_b32_e64 v82, v82, v175, s[4:5]
	v_cndmask_b32_e64 v83, v83, v108, s[2:3]
	;; [unrolled: 3-line block ×4, first 2 shown]
	v_cndmask_b32_e64 v83, v82, v170, s[10:11]
	v_cndmask_b32_e64 v82, v110, v163, s[8:9]
	;; [unrolled: 1-line block ×3, first 2 shown]
	v_add_f64 v[82:83], v[82:83], -v[100:101]
	v_add_co_u32_e64 v100, s[12:13], v177, v216
	v_addc_co_u32_e64 v101, s[12:13], 0, v178, s[12:13]
	v_and_b32_e32 v100, -8, v100
	v_sub_co_u32_e64 v110, s[12:13], v177, v100
	v_subb_co_u32_e64 v111, s[12:13], v178, v101, s[12:13]
	v_cmp_eq_u64_e64 s[12:13], 0, v[84:85]
	v_cndmask_b32_e32 v112, v112, v82, vcc
	v_cndmask_b32_e32 v113, v113, v83, vcc
	v_cmp_eq_u64_e32 vcc, 1, v[110:111]
	v_cndmask_b32_e64 v106, v106, v82, s[0:1]
	v_cndmask_b32_e64 v84, v170, v83, s[10:11]
	v_cndmask_b32_e64 v170, v173, v83, s[8:9]
	v_cndmask_b32_e64 v107, v107, v83, s[0:1]
	v_cndmask_b32_e64 v173, v176, v83, s[12:13]
	v_cmp_eq_u64_e64 s[0:1], 2, v[110:111]
	v_fma_f64 v[98:99], v[209:210], v[171:172], v[98:99]
	v_cndmask_b32_e64 v100, v162, v82, s[10:11]
	v_cndmask_b32_e64 v101, v163, v82, s[8:9]
	;; [unrolled: 1-line block ×7, first 2 shown]
	v_cndmask_b32_e32 v82, v173, v113, vcc
	v_cmp_eq_u64_e64 s[2:3], 3, v[110:111]
	v_cndmask_b32_e64 v171, v174, v83, s[6:7]
	v_cndmask_b32_e64 v172, v175, v83, s[4:5]
	;; [unrolled: 1-line block ×3, first 2 shown]
	v_cndmask_b32_e32 v83, v169, v112, vcc
	v_cmp_eq_u64_e64 s[4:5], 4, v[110:111]
	v_cndmask_b32_e64 v82, v82, v109, s[2:3]
	v_cndmask_b32_e64 v83, v83, v106, s[0:1]
	v_cmp_eq_u64_e64 s[6:7], 5, v[110:111]
	v_cndmask_b32_e64 v82, v82, v172, s[4:5]
	v_cndmask_b32_e64 v83, v83, v108, s[2:3]
	;; [unrolled: 3-line block ×4, first 2 shown]
	v_cndmask_b32_e64 v83, v82, v84, s[10:11]
	v_cndmask_b32_e64 v82, v85, v101, s[8:9]
	;; [unrolled: 1-line block ×3, first 2 shown]
	v_add_f64 v[162:163], v[82:83], -v[98:99]
	v_cndmask_b32_e32 v113, v113, v163, vcc
	v_cndmask_b32_e32 v112, v112, v162, vcc
	v_cmp_eq_u64_e32 vcc, 0, v[110:111]
	v_cndmask_b32_e64 v85, v84, v163, s[10:11]
	v_cndmask_b32_e64 v84, v100, v162, s[10:11]
	;; [unrolled: 1-line block ×12, first 2 shown]
	v_cndmask_b32_e32 v111, v173, v163, vcc
	v_cndmask_b32_e32 v110, v169, v162, vcc
.LBB0_14:                               ;   in Loop: Header=BB0_10 Depth=2
	s_or_b64 exec, exec, s[42:43]
	global_load_dwordx2 v[162:163], v[158:159], off offset:16
	v_mov_b32_e32 v167, s23
	s_waitcnt vmcnt(0)
	v_lshlrev_b64 v[162:163], 3, v[162:163]
	v_add_co_u32_e32 v162, vcc, s22, v162
	v_addc_co_u32_e32 v163, vcc, v167, v163, vcc
	global_load_dwordx2 v[167:168], v[160:161], off offset:16
	s_nop 0
	global_load_dwordx2 v[162:163], v[162:163], off
	s_waitcnt vmcnt(1)
	v_cmp_ne_u64_e32 vcc, 0, v[167:168]
	s_waitcnt vmcnt(0)
	v_cmp_lt_i64_e64 s[0:1], -1, v[162:163]
	s_and_b64 s[0:1], s[0:1], vcc
	s_and_saveexec_b64 s[42:43], s[0:1]
	s_cbranch_execz .LBB0_16
; %bb.15:                               ;   in Loop: Header=BB0_10 Depth=2
	v_lshlrev_b64 v[175:176], 5, v[162:163]
	v_mov_b32_e32 v168, s25
	v_add_co_u32_e32 v167, vcc, s24, v175
	v_addc_co_u32_e32 v168, vcc, v168, v176, vcc
	global_load_dwordx2 v[167:168], v[167:168], off
	v_mov_b32_e32 v177, s26
	v_mov_b32_e32 v178, s24
	;; [unrolled: 1-line block ×5, first 2 shown]
	v_lshlrev_b64 v[162:163], 8, v[162:163]
	v_mov_b32_e32 v183, s15
	v_mov_b32_e32 v215, s54
	s_waitcnt vmcnt(0)
	v_ashrrev_i32_e32 v171, 31, v168
	v_lshrrev_b32_e32 v171, 29, v171
	v_add_co_u32_e32 v167, vcc, v167, v171
	v_addc_co_u32_e32 v168, vcc, 0, v168, vcc
	v_ashrrev_i64 v[167:168], 3, v[167:168]
	v_cmp_eq_u64_e32 vcc, v[154:155], v[167:168]
	v_cndmask_b32_e32 v168, v178, v177, vcc
	v_cndmask_b32_e32 v167, v170, v169, vcc
	v_add_co_u32_e64 v171, s[0:1], v168, v175
	v_addc_co_u32_e64 v172, s[0:1], v167, v176, s[0:1]
	v_cndmask_b32_e32 v180, v169, v170, vcc
	global_load_dwordx4 v[167:170], v[171:172], off
	s_nop 0
	global_load_dwordx4 v[171:174], v[171:172], off offset:16
	v_cndmask_b32_e32 v177, v177, v178, vcc
	v_cndmask_b32_e32 v178, 0, v166, vcc
	v_add_co_u32_e32 v179, vcc, v177, v175
	v_addc_co_u32_e32 v180, vcc, v180, v176, vcc
	v_add_co_u32_e32 v184, vcc, s40, v178
	v_addc_co_u32_e32 v185, vcc, 0, v181, vcc
	global_load_dwordx4 v[175:178], v[179:180], off offset:16
	s_nop 0
	global_load_dwordx4 v[179:182], v[179:180], off
	v_add_co_u32_e32 v162, vcc, v184, v162
	v_addc_co_u32_e32 v163, vcc, v185, v163, vcc
	v_add_co_u32_e32 v162, vcc, s14, v162
	v_addc_co_u32_e32 v163, vcc, v163, v183, vcc
	global_load_dwordx4 v[183:186], v[162:163], off
	global_load_dwordx4 v[187:190], v[162:163], off offset:16
	global_load_dwordx4 v[191:194], v[162:163], off offset:32
	;; [unrolled: 1-line block ×7, first 2 shown]
	s_waitcnt vmcnt(11)
	v_lshlrev_b64 v[162:163], 3, v[167:168]
	v_lshlrev_b64 v[167:168], 3, v[169:170]
	v_add_co_u32_e32 v162, vcc, s53, v162
	v_addc_co_u32_e32 v163, vcc, v215, v163, vcc
	global_load_dwordx2 v[162:163], v[162:163], off
	v_add_co_u32_e32 v167, vcc, s53, v167
	v_addc_co_u32_e32 v168, vcc, v215, v168, vcc
	global_load_dwordx2 v[167:168], v[167:168], off
	s_waitcnt vmcnt(12)
	v_lshlrev_b64 v[169:170], 3, v[171:172]
	v_lshlrev_b64 v[171:172], 3, v[173:174]
	v_add_co_u32_e32 v169, vcc, s53, v169
	v_addc_co_u32_e32 v170, vcc, v215, v170, vcc
	global_load_dwordx2 v[169:170], v[169:170], off
	v_add_co_u32_e32 v171, vcc, s53, v171
	v_addc_co_u32_e32 v172, vcc, v215, v172, vcc
	global_load_dwordx2 v[171:172], v[171:172], off
	s_waitcnt vmcnt(12)
	v_ashrrev_i32_e32 v173, 31, v180
	v_ashrrev_i32_e32 v174, 31, v182
	v_lshrrev_b32_e32 v217, 29, v173
	v_lshrrev_b32_e32 v218, 29, v174
	s_waitcnt vmcnt(11)
	v_mul_f64 v[173:174], v[146:147], v[183:184]
	v_mul_f64 v[183:184], v[146:147], v[185:186]
	v_add_co_u32_e32 v217, vcc, v179, v217
	v_addc_co_u32_e32 v219, vcc, 0, v180, vcc
	v_ashrrev_i32_e32 v215, 31, v176
	v_add_co_u32_e32 v218, vcc, v181, v218
	v_lshrrev_b32_e32 v215, 29, v215
	s_waitcnt vmcnt(10)
	v_mul_f64 v[185:186], v[146:147], v[187:188]
	v_addc_co_u32_e32 v220, vcc, 0, v182, vcc
	v_add_co_u32_e32 v215, vcc, v175, v215
	v_mul_f64 v[187:188], v[146:147], v[189:190]
	s_waitcnt vmcnt(9)
	v_mul_f64 v[189:190], v[146:147], v[191:192]
	v_mul_f64 v[191:192], v[146:147], v[193:194]
	s_waitcnt vmcnt(8)
	v_mul_f64 v[193:194], v[146:147], v[195:196]
	;; [unrolled: 3-line block ×4, first 2 shown]
	v_mul_f64 v[203:204], v[146:147], v[205:206]
	v_addc_co_u32_e32 v221, vcc, 0, v176, vcc
	s_waitcnt vmcnt(4)
	v_mul_f64 v[205:206], v[146:147], v[211:212]
	v_mul_f64 v[211:212], v[146:147], v[213:214]
	v_and_b32_e32 v213, -8, v217
	v_sub_co_u32_e32 v179, vcc, v179, v213
	v_subb_co_u32_e32 v180, vcc, v180, v219, vcc
	v_cmp_eq_u64_e32 vcc, 1, v[179:180]
	v_cmp_eq_u64_e64 s[0:1], 2, v[179:180]
	v_cndmask_b32_e32 v213, v111, v113, vcc
	v_cmp_eq_u64_e64 s[2:3], 3, v[179:180]
	v_cndmask_b32_e64 v213, v213, v107, s[0:1]
	v_cmp_eq_u64_e64 s[4:5], 4, v[179:180]
	v_cmp_eq_u64_e64 s[6:7], 5, v[179:180]
	;; [unrolled: 1-line block ×4, first 2 shown]
	v_and_b32_e32 v214, -8, v218
	v_sub_co_u32_e64 v181, s[12:13], v181, v214
	v_subb_co_u32_e64 v182, s[12:13], v182, v220, s[12:13]
	v_cmp_eq_u64_e64 s[12:13], 0, v[179:180]
	v_mul_f64 v[207:208], v[146:147], v[207:208]
	v_ashrrev_i32_e32 v216, 31, v178
	v_lshrrev_b32_e32 v216, 29, v216
	v_mul_f64 v[209:210], v[146:147], v[209:210]
	s_waitcnt vmcnt(3)
	v_fma_f64 v[173:174], v[173:174], v[162:163], 0
	s_waitcnt vmcnt(2)
	v_fma_f64 v[173:174], v[183:184], v[167:168], v[173:174]
	v_cndmask_b32_e64 v183, v213, v109, s[2:3]
	v_cndmask_b32_e32 v184, v110, v112, vcc
	v_cndmask_b32_e64 v213, v183, v99, s[4:5]
	v_cndmask_b32_e64 v217, v184, v106, s[0:1]
	v_fma_f64 v[183:184], v[189:190], v[162:163], 0
	s_waitcnt vmcnt(1)
	v_fma_f64 v[173:174], v[185:186], v[169:170], v[173:174]
	v_cndmask_b32_e64 v185, v213, v101, s[6:7]
	v_cndmask_b32_e64 v186, v217, v108, s[2:3]
	v_cndmask_b32_e64 v189, v185, v83, s[8:9]
	v_cndmask_b32_e64 v190, v186, v98, s[4:5]
	v_fma_f64 v[185:186], v[197:198], v[162:163], 0
	v_fma_f64 v[183:184], v[191:192], v[167:168], v[183:184]
	;; [unrolled: 1-line block ×3, first 2 shown]
	s_waitcnt vmcnt(0)
	v_fma_f64 v[173:174], v[187:188], v[171:172], v[173:174]
	v_cndmask_b32_e64 v187, v190, v100, s[6:7]
	v_cndmask_b32_e64 v187, v187, v82, s[8:9]
	;; [unrolled: 1-line block ×4, first 2 shown]
	v_fma_f64 v[185:186], v[199:200], v[167:168], v[185:186]
	v_fma_f64 v[183:184], v[193:194], v[169:170], v[183:184]
	;; [unrolled: 1-line block ×3, first 2 shown]
	v_add_f64 v[173:174], v[187:188], -v[173:174]
	v_fma_f64 v[167:168], v[201:202], v[169:170], v[185:186]
	v_fma_f64 v[183:184], v[195:196], v[171:172], v[183:184]
	v_cndmask_b32_e32 v112, v112, v173, vcc
	v_cndmask_b32_e32 v113, v113, v174, vcc
	v_cmp_eq_u64_e32 vcc, 1, v[181:182]
	v_cndmask_b32_e64 v106, v106, v173, s[0:1]
	v_cndmask_b32_e64 v107, v107, v174, s[0:1]
	;; [unrolled: 1-line block ×3, first 2 shown]
	v_cmp_eq_u64_e64 s[0:1], 2, v[181:182]
	v_cndmask_b32_e64 v186, v82, v173, s[8:9]
	v_cndmask_b32_e64 v108, v108, v173, s[2:3]
	;; [unrolled: 1-line block ×4, first 2 shown]
	v_cndmask_b32_e32 v82, v111, v113, vcc
	v_cmp_eq_u64_e64 s[2:3], 3, v[181:182]
	v_cndmask_b32_e64 v188, v98, v173, s[4:5]
	v_cndmask_b32_e64 v179, v83, v174, s[8:9]
	;; [unrolled: 1-line block ×4, first 2 shown]
	v_cndmask_b32_e32 v83, v110, v112, vcc
	v_cmp_eq_u64_e64 s[4:5], 4, v[181:182]
	v_cndmask_b32_e64 v187, v100, v173, s[6:7]
	v_cndmask_b32_e64 v180, v101, v174, s[6:7]
	;; [unrolled: 1-line block ×4, first 2 shown]
	v_cmp_eq_u64_e64 s[6:7], 5, v[181:182]
	v_cndmask_b32_e64 v82, v82, v189, s[4:5]
	v_cndmask_b32_e64 v83, v83, v108, s[2:3]
	v_cmp_eq_u64_e64 s[8:9], 6, v[181:182]
	v_cndmask_b32_e64 v185, v84, v173, s[10:11]
	v_cndmask_b32_e64 v173, v85, v174, s[10:11]
	;; [unrolled: 1-line block ×4, first 2 shown]
	v_cmp_eq_u64_e64 s[10:11], 7, v[181:182]
	v_cndmask_b32_e64 v82, v82, v179, s[8:9]
	v_cndmask_b32_e64 v84, v83, v187, s[6:7]
	;; [unrolled: 1-line block ×5, first 2 shown]
	v_add_f64 v[82:83], v[82:83], -v[183:184]
	v_and_b32_e32 v84, -8, v215
	v_sub_co_u32_e64 v84, s[12:13], v175, v84
	v_subb_co_u32_e64 v85, s[12:13], v176, v221, s[12:13]
	v_cmp_eq_u64_e64 s[12:13], 0, v[181:182]
	v_fma_f64 v[98:99], v[207:208], v[169:170], v[162:163]
	v_cndmask_b32_e32 v112, v112, v82, vcc
	v_cndmask_b32_e32 v113, v113, v83, vcc
	v_cmp_eq_u64_e32 vcc, 1, v[84:85]
	v_cndmask_b32_e64 v106, v106, v82, s[0:1]
	v_cndmask_b32_e64 v107, v107, v83, s[0:1]
	;; [unrolled: 1-line block ×3, first 2 shown]
	v_cmp_eq_u64_e64 s[0:1], 2, v[84:85]
	v_fma_f64 v[100:101], v[203:204], v[171:172], v[167:168]
	v_cndmask_b32_e64 v162, v185, v82, s[10:11]
	v_cndmask_b32_e64 v163, v186, v82, s[8:9]
	v_cndmask_b32_e64 v167, v187, v82, s[6:7]
	v_cndmask_b32_e64 v168, v188, v82, s[4:5]
	v_cndmask_b32_e64 v108, v108, v82, s[2:3]
	v_cndmask_b32_e64 v169, v110, v82, s[12:13]
	v_cndmask_b32_e64 v109, v109, v83, s[2:3]
	v_cndmask_b32_e32 v82, v176, v113, vcc
	v_cmp_eq_u64_e64 s[2:3], 3, v[84:85]
	v_cndmask_b32_e64 v170, v173, v83, s[10:11]
	v_cndmask_b32_e64 v173, v179, v83, s[8:9]
	;; [unrolled: 1-line block ×5, first 2 shown]
	v_cndmask_b32_e32 v83, v169, v112, vcc
	v_cmp_eq_u64_e64 s[4:5], 4, v[84:85]
	v_cndmask_b32_e64 v82, v82, v109, s[2:3]
	v_cndmask_b32_e64 v83, v83, v106, s[0:1]
	v_cmp_eq_u64_e64 s[6:7], 5, v[84:85]
	v_cndmask_b32_e64 v82, v82, v175, s[4:5]
	v_cndmask_b32_e64 v83, v83, v108, s[2:3]
	;; [unrolled: 3-line block ×4, first 2 shown]
	v_cndmask_b32_e64 v83, v82, v170, s[10:11]
	v_cndmask_b32_e64 v82, v110, v163, s[8:9]
	;; [unrolled: 1-line block ×3, first 2 shown]
	v_add_f64 v[82:83], v[82:83], -v[100:101]
	v_add_co_u32_e64 v100, s[12:13], v177, v216
	v_addc_co_u32_e64 v101, s[12:13], 0, v178, s[12:13]
	v_and_b32_e32 v100, -8, v100
	v_sub_co_u32_e64 v110, s[12:13], v177, v100
	v_subb_co_u32_e64 v111, s[12:13], v178, v101, s[12:13]
	v_cmp_eq_u64_e64 s[12:13], 0, v[84:85]
	v_cndmask_b32_e32 v112, v112, v82, vcc
	v_cndmask_b32_e32 v113, v113, v83, vcc
	v_cmp_eq_u64_e32 vcc, 1, v[110:111]
	v_cndmask_b32_e64 v106, v106, v82, s[0:1]
	v_cndmask_b32_e64 v84, v170, v83, s[10:11]
	;; [unrolled: 1-line block ×5, first 2 shown]
	v_cmp_eq_u64_e64 s[0:1], 2, v[110:111]
	v_fma_f64 v[98:99], v[209:210], v[171:172], v[98:99]
	v_cndmask_b32_e64 v100, v162, v82, s[10:11]
	v_cndmask_b32_e64 v101, v163, v82, s[8:9]
	;; [unrolled: 1-line block ×7, first 2 shown]
	v_cndmask_b32_e32 v82, v173, v113, vcc
	v_cmp_eq_u64_e64 s[2:3], 3, v[110:111]
	v_cndmask_b32_e64 v171, v174, v83, s[6:7]
	v_cndmask_b32_e64 v172, v175, v83, s[4:5]
	;; [unrolled: 1-line block ×3, first 2 shown]
	v_cndmask_b32_e32 v83, v169, v112, vcc
	v_cmp_eq_u64_e64 s[4:5], 4, v[110:111]
	v_cndmask_b32_e64 v82, v82, v109, s[2:3]
	v_cndmask_b32_e64 v83, v83, v106, s[0:1]
	v_cmp_eq_u64_e64 s[6:7], 5, v[110:111]
	v_cndmask_b32_e64 v82, v82, v172, s[4:5]
	v_cndmask_b32_e64 v83, v83, v108, s[2:3]
	;; [unrolled: 3-line block ×4, first 2 shown]
	v_cndmask_b32_e64 v83, v82, v84, s[10:11]
	v_cndmask_b32_e64 v82, v85, v101, s[8:9]
	;; [unrolled: 1-line block ×3, first 2 shown]
	v_add_f64 v[162:163], v[82:83], -v[98:99]
	v_cndmask_b32_e32 v113, v113, v163, vcc
	v_cndmask_b32_e32 v112, v112, v162, vcc
	v_cmp_eq_u64_e32 vcc, 0, v[110:111]
	v_cndmask_b32_e64 v85, v84, v163, s[10:11]
	v_cndmask_b32_e64 v84, v100, v162, s[10:11]
	;; [unrolled: 1-line block ×12, first 2 shown]
	v_cndmask_b32_e32 v111, v173, v163, vcc
	v_cndmask_b32_e32 v110, v169, v162, vcc
.LBB0_16:                               ;   in Loop: Header=BB0_10 Depth=2
	s_or_b64 exec, exec, s[42:43]
	global_load_dwordx2 v[162:163], v[158:159], off offset:24
	v_mov_b32_e32 v167, s23
	s_waitcnt vmcnt(0)
	v_lshlrev_b64 v[162:163], 3, v[162:163]
	v_add_co_u32_e32 v162, vcc, s22, v162
	v_addc_co_u32_e32 v163, vcc, v167, v163, vcc
	global_load_dwordx2 v[167:168], v[160:161], off offset:24
	s_nop 0
	global_load_dwordx2 v[162:163], v[162:163], off
	s_waitcnt vmcnt(1)
	v_cmp_ne_u64_e32 vcc, 0, v[167:168]
	s_waitcnt vmcnt(0)
	v_cmp_lt_i64_e64 s[0:1], -1, v[162:163]
	s_and_b64 s[0:1], s[0:1], vcc
	s_and_saveexec_b64 s[42:43], s[0:1]
	s_cbranch_execz .LBB0_18
; %bb.17:                               ;   in Loop: Header=BB0_10 Depth=2
	v_lshlrev_b64 v[175:176], 5, v[162:163]
	v_mov_b32_e32 v168, s25
	v_add_co_u32_e32 v167, vcc, s24, v175
	v_addc_co_u32_e32 v168, vcc, v168, v176, vcc
	global_load_dwordx2 v[167:168], v[167:168], off
	v_mov_b32_e32 v177, s26
	v_mov_b32_e32 v178, s24
	;; [unrolled: 1-line block ×5, first 2 shown]
	v_lshlrev_b64 v[162:163], 8, v[162:163]
	v_mov_b32_e32 v183, s15
	v_mov_b32_e32 v215, s54
	s_waitcnt vmcnt(0)
	v_ashrrev_i32_e32 v171, 31, v168
	v_lshrrev_b32_e32 v171, 29, v171
	v_add_co_u32_e32 v167, vcc, v167, v171
	v_addc_co_u32_e32 v168, vcc, 0, v168, vcc
	v_ashrrev_i64 v[167:168], 3, v[167:168]
	v_cmp_eq_u64_e32 vcc, v[154:155], v[167:168]
	v_cndmask_b32_e32 v168, v178, v177, vcc
	v_cndmask_b32_e32 v167, v170, v169, vcc
	v_add_co_u32_e64 v171, s[0:1], v168, v175
	v_addc_co_u32_e64 v172, s[0:1], v167, v176, s[0:1]
	v_cndmask_b32_e32 v180, v169, v170, vcc
	global_load_dwordx4 v[167:170], v[171:172], off
	s_nop 0
	global_load_dwordx4 v[171:174], v[171:172], off offset:16
	v_cndmask_b32_e32 v177, v177, v178, vcc
	v_cndmask_b32_e32 v178, 0, v166, vcc
	v_add_co_u32_e32 v179, vcc, v177, v175
	v_addc_co_u32_e32 v180, vcc, v180, v176, vcc
	v_add_co_u32_e32 v184, vcc, s40, v178
	v_addc_co_u32_e32 v185, vcc, 0, v181, vcc
	global_load_dwordx4 v[175:178], v[179:180], off offset:16
	s_nop 0
	global_load_dwordx4 v[179:182], v[179:180], off
	v_add_co_u32_e32 v162, vcc, v184, v162
	v_addc_co_u32_e32 v163, vcc, v185, v163, vcc
	v_add_co_u32_e32 v162, vcc, s14, v162
	v_addc_co_u32_e32 v163, vcc, v163, v183, vcc
	global_load_dwordx4 v[183:186], v[162:163], off
	global_load_dwordx4 v[187:190], v[162:163], off offset:16
	global_load_dwordx4 v[191:194], v[162:163], off offset:32
	global_load_dwordx4 v[195:198], v[162:163], off offset:48
	global_load_dwordx4 v[199:202], v[162:163], off offset:64
	global_load_dwordx4 v[203:206], v[162:163], off offset:80
	global_load_dwordx4 v[207:210], v[162:163], off offset:112
	global_load_dwordx4 v[211:214], v[162:163], off offset:96
	s_waitcnt vmcnt(11)
	v_lshlrev_b64 v[162:163], 3, v[167:168]
	v_lshlrev_b64 v[167:168], 3, v[169:170]
	v_add_co_u32_e32 v162, vcc, s53, v162
	v_addc_co_u32_e32 v163, vcc, v215, v163, vcc
	global_load_dwordx2 v[162:163], v[162:163], off
	v_add_co_u32_e32 v167, vcc, s53, v167
	v_addc_co_u32_e32 v168, vcc, v215, v168, vcc
	global_load_dwordx2 v[167:168], v[167:168], off
	s_waitcnt vmcnt(12)
	v_lshlrev_b64 v[169:170], 3, v[171:172]
	v_lshlrev_b64 v[171:172], 3, v[173:174]
	v_add_co_u32_e32 v169, vcc, s53, v169
	v_addc_co_u32_e32 v170, vcc, v215, v170, vcc
	global_load_dwordx2 v[169:170], v[169:170], off
	v_add_co_u32_e32 v171, vcc, s53, v171
	v_addc_co_u32_e32 v172, vcc, v215, v172, vcc
	global_load_dwordx2 v[171:172], v[171:172], off
	s_waitcnt vmcnt(12)
	v_ashrrev_i32_e32 v173, 31, v180
	v_ashrrev_i32_e32 v174, 31, v182
	v_lshrrev_b32_e32 v217, 29, v173
	v_lshrrev_b32_e32 v218, 29, v174
	s_waitcnt vmcnt(11)
	v_mul_f64 v[173:174], v[146:147], v[183:184]
	v_mul_f64 v[183:184], v[146:147], v[185:186]
	v_add_co_u32_e32 v217, vcc, v179, v217
	v_addc_co_u32_e32 v219, vcc, 0, v180, vcc
	v_ashrrev_i32_e32 v215, 31, v176
	v_add_co_u32_e32 v218, vcc, v181, v218
	v_lshrrev_b32_e32 v215, 29, v215
	s_waitcnt vmcnt(10)
	v_mul_f64 v[185:186], v[146:147], v[187:188]
	v_addc_co_u32_e32 v220, vcc, 0, v182, vcc
	v_add_co_u32_e32 v215, vcc, v175, v215
	v_mul_f64 v[187:188], v[146:147], v[189:190]
	s_waitcnt vmcnt(9)
	v_mul_f64 v[189:190], v[146:147], v[191:192]
	v_mul_f64 v[191:192], v[146:147], v[193:194]
	s_waitcnt vmcnt(8)
	v_mul_f64 v[193:194], v[146:147], v[195:196]
	;; [unrolled: 3-line block ×4, first 2 shown]
	v_mul_f64 v[203:204], v[146:147], v[205:206]
	v_addc_co_u32_e32 v221, vcc, 0, v176, vcc
	s_waitcnt vmcnt(4)
	v_mul_f64 v[205:206], v[146:147], v[211:212]
	v_mul_f64 v[211:212], v[146:147], v[213:214]
	v_and_b32_e32 v213, -8, v217
	v_sub_co_u32_e32 v179, vcc, v179, v213
	v_subb_co_u32_e32 v180, vcc, v180, v219, vcc
	v_cmp_eq_u64_e32 vcc, 1, v[179:180]
	v_cmp_eq_u64_e64 s[0:1], 2, v[179:180]
	v_cndmask_b32_e32 v213, v111, v113, vcc
	v_cmp_eq_u64_e64 s[2:3], 3, v[179:180]
	v_cndmask_b32_e64 v213, v213, v107, s[0:1]
	v_cmp_eq_u64_e64 s[4:5], 4, v[179:180]
	v_cmp_eq_u64_e64 s[6:7], 5, v[179:180]
	;; [unrolled: 1-line block ×4, first 2 shown]
	v_and_b32_e32 v214, -8, v218
	v_sub_co_u32_e64 v181, s[12:13], v181, v214
	v_subb_co_u32_e64 v182, s[12:13], v182, v220, s[12:13]
	v_cmp_eq_u64_e64 s[12:13], 0, v[179:180]
	v_mul_f64 v[207:208], v[146:147], v[207:208]
	v_ashrrev_i32_e32 v216, 31, v178
	v_lshrrev_b32_e32 v216, 29, v216
	v_mul_f64 v[209:210], v[146:147], v[209:210]
	s_waitcnt vmcnt(3)
	v_fma_f64 v[173:174], v[173:174], v[162:163], 0
	s_waitcnt vmcnt(2)
	v_fma_f64 v[173:174], v[183:184], v[167:168], v[173:174]
	v_cndmask_b32_e64 v183, v213, v109, s[2:3]
	v_cndmask_b32_e32 v184, v110, v112, vcc
	v_cndmask_b32_e64 v213, v183, v99, s[4:5]
	v_cndmask_b32_e64 v217, v184, v106, s[0:1]
	v_fma_f64 v[183:184], v[189:190], v[162:163], 0
	s_waitcnt vmcnt(1)
	v_fma_f64 v[173:174], v[185:186], v[169:170], v[173:174]
	v_cndmask_b32_e64 v185, v213, v101, s[6:7]
	v_cndmask_b32_e64 v186, v217, v108, s[2:3]
	;; [unrolled: 1-line block ×4, first 2 shown]
	v_fma_f64 v[185:186], v[197:198], v[162:163], 0
	v_fma_f64 v[183:184], v[191:192], v[167:168], v[183:184]
	;; [unrolled: 1-line block ×3, first 2 shown]
	s_waitcnt vmcnt(0)
	v_fma_f64 v[173:174], v[187:188], v[171:172], v[173:174]
	v_cndmask_b32_e64 v187, v190, v100, s[6:7]
	v_cndmask_b32_e64 v187, v187, v82, s[8:9]
	;; [unrolled: 1-line block ×4, first 2 shown]
	v_fma_f64 v[185:186], v[199:200], v[167:168], v[185:186]
	v_fma_f64 v[183:184], v[193:194], v[169:170], v[183:184]
	;; [unrolled: 1-line block ×3, first 2 shown]
	v_add_f64 v[173:174], v[187:188], -v[173:174]
	v_fma_f64 v[167:168], v[201:202], v[169:170], v[185:186]
	v_fma_f64 v[183:184], v[195:196], v[171:172], v[183:184]
	v_cndmask_b32_e32 v112, v112, v173, vcc
	v_cndmask_b32_e32 v113, v113, v174, vcc
	v_cmp_eq_u64_e32 vcc, 1, v[181:182]
	v_cndmask_b32_e64 v106, v106, v173, s[0:1]
	v_cndmask_b32_e64 v107, v107, v174, s[0:1]
	v_cndmask_b32_e64 v111, v111, v174, s[12:13]
	v_cmp_eq_u64_e64 s[0:1], 2, v[181:182]
	v_cndmask_b32_e64 v186, v82, v173, s[8:9]
	v_cndmask_b32_e64 v108, v108, v173, s[2:3]
	;; [unrolled: 1-line block ×4, first 2 shown]
	v_cndmask_b32_e32 v82, v111, v113, vcc
	v_cmp_eq_u64_e64 s[2:3], 3, v[181:182]
	v_cndmask_b32_e64 v188, v98, v173, s[4:5]
	v_cndmask_b32_e64 v179, v83, v174, s[8:9]
	;; [unrolled: 1-line block ×4, first 2 shown]
	v_cndmask_b32_e32 v83, v110, v112, vcc
	v_cmp_eq_u64_e64 s[4:5], 4, v[181:182]
	v_cndmask_b32_e64 v187, v100, v173, s[6:7]
	v_cndmask_b32_e64 v180, v101, v174, s[6:7]
	;; [unrolled: 1-line block ×4, first 2 shown]
	v_cmp_eq_u64_e64 s[6:7], 5, v[181:182]
	v_cndmask_b32_e64 v82, v82, v189, s[4:5]
	v_cndmask_b32_e64 v83, v83, v108, s[2:3]
	v_cmp_eq_u64_e64 s[8:9], 6, v[181:182]
	v_cndmask_b32_e64 v185, v84, v173, s[10:11]
	v_cndmask_b32_e64 v173, v85, v174, s[10:11]
	;; [unrolled: 1-line block ×4, first 2 shown]
	v_cmp_eq_u64_e64 s[10:11], 7, v[181:182]
	v_cndmask_b32_e64 v82, v82, v179, s[8:9]
	v_cndmask_b32_e64 v84, v83, v187, s[6:7]
	;; [unrolled: 1-line block ×5, first 2 shown]
	v_add_f64 v[82:83], v[82:83], -v[183:184]
	v_and_b32_e32 v84, -8, v215
	v_sub_co_u32_e64 v84, s[12:13], v175, v84
	v_subb_co_u32_e64 v85, s[12:13], v176, v221, s[12:13]
	v_cmp_eq_u64_e64 s[12:13], 0, v[181:182]
	v_fma_f64 v[98:99], v[207:208], v[169:170], v[162:163]
	v_cndmask_b32_e32 v112, v112, v82, vcc
	v_cndmask_b32_e32 v113, v113, v83, vcc
	v_cmp_eq_u64_e32 vcc, 1, v[84:85]
	v_cndmask_b32_e64 v106, v106, v82, s[0:1]
	v_cndmask_b32_e64 v107, v107, v83, s[0:1]
	v_cndmask_b32_e64 v176, v111, v83, s[12:13]
	v_cmp_eq_u64_e64 s[0:1], 2, v[84:85]
	v_fma_f64 v[100:101], v[203:204], v[171:172], v[167:168]
	v_cndmask_b32_e64 v162, v185, v82, s[10:11]
	v_cndmask_b32_e64 v163, v186, v82, s[8:9]
	v_cndmask_b32_e64 v167, v187, v82, s[6:7]
	v_cndmask_b32_e64 v168, v188, v82, s[4:5]
	v_cndmask_b32_e64 v108, v108, v82, s[2:3]
	v_cndmask_b32_e64 v169, v110, v82, s[12:13]
	v_cndmask_b32_e64 v109, v109, v83, s[2:3]
	v_cndmask_b32_e32 v82, v176, v113, vcc
	v_cmp_eq_u64_e64 s[2:3], 3, v[84:85]
	v_cndmask_b32_e64 v170, v173, v83, s[10:11]
	v_cndmask_b32_e64 v173, v179, v83, s[8:9]
	;; [unrolled: 1-line block ×5, first 2 shown]
	v_cndmask_b32_e32 v83, v169, v112, vcc
	v_cmp_eq_u64_e64 s[4:5], 4, v[84:85]
	v_cndmask_b32_e64 v82, v82, v109, s[2:3]
	v_cndmask_b32_e64 v83, v83, v106, s[0:1]
	v_cmp_eq_u64_e64 s[6:7], 5, v[84:85]
	v_cndmask_b32_e64 v82, v82, v175, s[4:5]
	v_cndmask_b32_e64 v83, v83, v108, s[2:3]
	;; [unrolled: 3-line block ×4, first 2 shown]
	v_cndmask_b32_e64 v83, v82, v170, s[10:11]
	v_cndmask_b32_e64 v82, v110, v163, s[8:9]
	;; [unrolled: 1-line block ×3, first 2 shown]
	v_add_f64 v[82:83], v[82:83], -v[100:101]
	v_add_co_u32_e64 v100, s[12:13], v177, v216
	v_addc_co_u32_e64 v101, s[12:13], 0, v178, s[12:13]
	v_and_b32_e32 v100, -8, v100
	v_sub_co_u32_e64 v110, s[12:13], v177, v100
	v_subb_co_u32_e64 v111, s[12:13], v178, v101, s[12:13]
	v_cmp_eq_u64_e64 s[12:13], 0, v[84:85]
	v_cndmask_b32_e32 v112, v112, v82, vcc
	v_cndmask_b32_e32 v113, v113, v83, vcc
	v_cmp_eq_u64_e32 vcc, 1, v[110:111]
	v_cndmask_b32_e64 v106, v106, v82, s[0:1]
	v_cndmask_b32_e64 v84, v170, v83, s[10:11]
	;; [unrolled: 1-line block ×5, first 2 shown]
	v_cmp_eq_u64_e64 s[0:1], 2, v[110:111]
	v_fma_f64 v[98:99], v[209:210], v[171:172], v[98:99]
	v_cndmask_b32_e64 v100, v162, v82, s[10:11]
	v_cndmask_b32_e64 v101, v163, v82, s[8:9]
	;; [unrolled: 1-line block ×7, first 2 shown]
	v_cndmask_b32_e32 v82, v173, v113, vcc
	v_cmp_eq_u64_e64 s[2:3], 3, v[110:111]
	v_cndmask_b32_e64 v171, v174, v83, s[6:7]
	v_cndmask_b32_e64 v172, v175, v83, s[4:5]
	;; [unrolled: 1-line block ×3, first 2 shown]
	v_cndmask_b32_e32 v83, v169, v112, vcc
	v_cmp_eq_u64_e64 s[4:5], 4, v[110:111]
	v_cndmask_b32_e64 v82, v82, v109, s[2:3]
	v_cndmask_b32_e64 v83, v83, v106, s[0:1]
	v_cmp_eq_u64_e64 s[6:7], 5, v[110:111]
	v_cndmask_b32_e64 v82, v82, v172, s[4:5]
	v_cndmask_b32_e64 v83, v83, v108, s[2:3]
	;; [unrolled: 3-line block ×4, first 2 shown]
	v_cndmask_b32_e64 v83, v82, v84, s[10:11]
	v_cndmask_b32_e64 v82, v85, v101, s[8:9]
	;; [unrolled: 1-line block ×3, first 2 shown]
	v_add_f64 v[162:163], v[82:83], -v[98:99]
	v_cndmask_b32_e32 v113, v113, v163, vcc
	v_cndmask_b32_e32 v112, v112, v162, vcc
	v_cmp_eq_u64_e32 vcc, 0, v[110:111]
	v_cndmask_b32_e64 v85, v84, v163, s[10:11]
	v_cndmask_b32_e64 v84, v100, v162, s[10:11]
	v_cndmask_b32_e64 v83, v170, v163, s[8:9]
	v_cndmask_b32_e64 v82, v101, v162, s[8:9]
	v_cndmask_b32_e64 v101, v171, v163, s[6:7]
	v_cndmask_b32_e64 v100, v167, v162, s[6:7]
	v_cndmask_b32_e64 v99, v172, v163, s[4:5]
	v_cndmask_b32_e64 v98, v168, v162, s[4:5]
	v_cndmask_b32_e64 v109, v109, v163, s[2:3]
	v_cndmask_b32_e64 v108, v108, v162, s[2:3]
	v_cndmask_b32_e64 v107, v107, v163, s[0:1]
	v_cndmask_b32_e64 v106, v106, v162, s[0:1]
	v_cndmask_b32_e32 v111, v173, v163, vcc
	v_cndmask_b32_e32 v110, v169, v162, vcc
.LBB0_18:                               ;   in Loop: Header=BB0_10 Depth=2
	s_or_b64 exec, exec, s[42:43]
	global_load_dwordx2 v[162:163], v[158:159], off offset:32
	v_mov_b32_e32 v167, s23
	s_waitcnt vmcnt(0)
	v_lshlrev_b64 v[162:163], 3, v[162:163]
	v_add_co_u32_e32 v162, vcc, s22, v162
	v_addc_co_u32_e32 v163, vcc, v167, v163, vcc
	global_load_dwordx2 v[167:168], v[160:161], off offset:32
	s_nop 0
	global_load_dwordx2 v[162:163], v[162:163], off
	s_waitcnt vmcnt(1)
	v_cmp_ne_u64_e32 vcc, 0, v[167:168]
	s_waitcnt vmcnt(0)
	v_cmp_lt_i64_e64 s[0:1], -1, v[162:163]
	s_and_b64 s[0:1], s[0:1], vcc
	s_and_saveexec_b64 s[42:43], s[0:1]
	s_cbranch_execz .LBB0_20
; %bb.19:                               ;   in Loop: Header=BB0_10 Depth=2
	v_lshlrev_b64 v[175:176], 5, v[162:163]
	v_mov_b32_e32 v168, s25
	v_add_co_u32_e32 v167, vcc, s24, v175
	v_addc_co_u32_e32 v168, vcc, v168, v176, vcc
	global_load_dwordx2 v[167:168], v[167:168], off
	v_mov_b32_e32 v177, s26
	v_mov_b32_e32 v178, s24
	;; [unrolled: 1-line block ×5, first 2 shown]
	v_lshlrev_b64 v[162:163], 8, v[162:163]
	v_mov_b32_e32 v183, s15
	v_mov_b32_e32 v215, s54
	s_waitcnt vmcnt(0)
	v_ashrrev_i32_e32 v171, 31, v168
	v_lshrrev_b32_e32 v171, 29, v171
	v_add_co_u32_e32 v167, vcc, v167, v171
	v_addc_co_u32_e32 v168, vcc, 0, v168, vcc
	v_ashrrev_i64 v[167:168], 3, v[167:168]
	v_cmp_eq_u64_e32 vcc, v[154:155], v[167:168]
	v_cndmask_b32_e32 v168, v178, v177, vcc
	v_cndmask_b32_e32 v167, v170, v169, vcc
	v_add_co_u32_e64 v171, s[0:1], v168, v175
	v_addc_co_u32_e64 v172, s[0:1], v167, v176, s[0:1]
	v_cndmask_b32_e32 v180, v169, v170, vcc
	global_load_dwordx4 v[167:170], v[171:172], off
	s_nop 0
	global_load_dwordx4 v[171:174], v[171:172], off offset:16
	v_cndmask_b32_e32 v177, v177, v178, vcc
	v_cndmask_b32_e32 v178, 0, v166, vcc
	v_add_co_u32_e32 v179, vcc, v177, v175
	v_addc_co_u32_e32 v180, vcc, v180, v176, vcc
	v_add_co_u32_e32 v184, vcc, s40, v178
	v_addc_co_u32_e32 v185, vcc, 0, v181, vcc
	global_load_dwordx4 v[175:178], v[179:180], off offset:16
	s_nop 0
	global_load_dwordx4 v[179:182], v[179:180], off
	v_add_co_u32_e32 v162, vcc, v184, v162
	v_addc_co_u32_e32 v163, vcc, v185, v163, vcc
	v_add_co_u32_e32 v162, vcc, s14, v162
	v_addc_co_u32_e32 v163, vcc, v163, v183, vcc
	global_load_dwordx4 v[183:186], v[162:163], off
	global_load_dwordx4 v[187:190], v[162:163], off offset:16
	global_load_dwordx4 v[191:194], v[162:163], off offset:32
	;; [unrolled: 1-line block ×7, first 2 shown]
	s_waitcnt vmcnt(11)
	v_lshlrev_b64 v[162:163], 3, v[167:168]
	v_lshlrev_b64 v[167:168], 3, v[169:170]
	v_add_co_u32_e32 v162, vcc, s53, v162
	v_addc_co_u32_e32 v163, vcc, v215, v163, vcc
	global_load_dwordx2 v[162:163], v[162:163], off
	v_add_co_u32_e32 v167, vcc, s53, v167
	v_addc_co_u32_e32 v168, vcc, v215, v168, vcc
	global_load_dwordx2 v[167:168], v[167:168], off
	s_waitcnt vmcnt(12)
	v_lshlrev_b64 v[169:170], 3, v[171:172]
	v_lshlrev_b64 v[171:172], 3, v[173:174]
	v_add_co_u32_e32 v169, vcc, s53, v169
	v_addc_co_u32_e32 v170, vcc, v215, v170, vcc
	global_load_dwordx2 v[169:170], v[169:170], off
	v_add_co_u32_e32 v171, vcc, s53, v171
	v_addc_co_u32_e32 v172, vcc, v215, v172, vcc
	global_load_dwordx2 v[171:172], v[171:172], off
	s_waitcnt vmcnt(12)
	v_ashrrev_i32_e32 v173, 31, v180
	v_ashrrev_i32_e32 v174, 31, v182
	v_lshrrev_b32_e32 v217, 29, v173
	v_lshrrev_b32_e32 v218, 29, v174
	s_waitcnt vmcnt(11)
	v_mul_f64 v[173:174], v[146:147], v[183:184]
	v_mul_f64 v[183:184], v[146:147], v[185:186]
	v_add_co_u32_e32 v217, vcc, v179, v217
	v_addc_co_u32_e32 v219, vcc, 0, v180, vcc
	v_ashrrev_i32_e32 v215, 31, v176
	v_add_co_u32_e32 v218, vcc, v181, v218
	v_lshrrev_b32_e32 v215, 29, v215
	s_waitcnt vmcnt(10)
	v_mul_f64 v[185:186], v[146:147], v[187:188]
	v_addc_co_u32_e32 v220, vcc, 0, v182, vcc
	v_add_co_u32_e32 v215, vcc, v175, v215
	v_mul_f64 v[187:188], v[146:147], v[189:190]
	s_waitcnt vmcnt(9)
	v_mul_f64 v[189:190], v[146:147], v[191:192]
	v_mul_f64 v[191:192], v[146:147], v[193:194]
	s_waitcnt vmcnt(8)
	v_mul_f64 v[193:194], v[146:147], v[195:196]
	;; [unrolled: 3-line block ×4, first 2 shown]
	v_mul_f64 v[203:204], v[146:147], v[205:206]
	v_addc_co_u32_e32 v221, vcc, 0, v176, vcc
	s_waitcnt vmcnt(4)
	v_mul_f64 v[205:206], v[146:147], v[211:212]
	v_mul_f64 v[211:212], v[146:147], v[213:214]
	v_and_b32_e32 v213, -8, v217
	v_sub_co_u32_e32 v179, vcc, v179, v213
	v_subb_co_u32_e32 v180, vcc, v180, v219, vcc
	v_cmp_eq_u64_e32 vcc, 1, v[179:180]
	v_cmp_eq_u64_e64 s[0:1], 2, v[179:180]
	v_cndmask_b32_e32 v213, v111, v113, vcc
	v_cmp_eq_u64_e64 s[2:3], 3, v[179:180]
	v_cndmask_b32_e64 v213, v213, v107, s[0:1]
	v_cmp_eq_u64_e64 s[4:5], 4, v[179:180]
	v_cmp_eq_u64_e64 s[6:7], 5, v[179:180]
	;; [unrolled: 1-line block ×4, first 2 shown]
	v_and_b32_e32 v214, -8, v218
	v_sub_co_u32_e64 v181, s[12:13], v181, v214
	v_subb_co_u32_e64 v182, s[12:13], v182, v220, s[12:13]
	v_cmp_eq_u64_e64 s[12:13], 0, v[179:180]
	v_mul_f64 v[207:208], v[146:147], v[207:208]
	v_ashrrev_i32_e32 v216, 31, v178
	v_lshrrev_b32_e32 v216, 29, v216
	v_mul_f64 v[209:210], v[146:147], v[209:210]
	s_waitcnt vmcnt(3)
	v_fma_f64 v[173:174], v[173:174], v[162:163], 0
	s_waitcnt vmcnt(2)
	v_fma_f64 v[173:174], v[183:184], v[167:168], v[173:174]
	v_cndmask_b32_e64 v183, v213, v109, s[2:3]
	v_cndmask_b32_e32 v184, v110, v112, vcc
	v_cndmask_b32_e64 v213, v183, v99, s[4:5]
	v_cndmask_b32_e64 v217, v184, v106, s[0:1]
	v_fma_f64 v[183:184], v[189:190], v[162:163], 0
	s_waitcnt vmcnt(1)
	v_fma_f64 v[173:174], v[185:186], v[169:170], v[173:174]
	v_cndmask_b32_e64 v185, v213, v101, s[6:7]
	v_cndmask_b32_e64 v186, v217, v108, s[2:3]
	;; [unrolled: 1-line block ×4, first 2 shown]
	v_fma_f64 v[185:186], v[197:198], v[162:163], 0
	v_fma_f64 v[183:184], v[191:192], v[167:168], v[183:184]
	;; [unrolled: 1-line block ×3, first 2 shown]
	s_waitcnt vmcnt(0)
	v_fma_f64 v[173:174], v[187:188], v[171:172], v[173:174]
	v_cndmask_b32_e64 v187, v190, v100, s[6:7]
	v_cndmask_b32_e64 v187, v187, v82, s[8:9]
	;; [unrolled: 1-line block ×4, first 2 shown]
	v_fma_f64 v[185:186], v[199:200], v[167:168], v[185:186]
	v_fma_f64 v[183:184], v[193:194], v[169:170], v[183:184]
	;; [unrolled: 1-line block ×3, first 2 shown]
	v_add_f64 v[173:174], v[187:188], -v[173:174]
	v_fma_f64 v[167:168], v[201:202], v[169:170], v[185:186]
	v_fma_f64 v[183:184], v[195:196], v[171:172], v[183:184]
	v_cndmask_b32_e32 v112, v112, v173, vcc
	v_cndmask_b32_e32 v113, v113, v174, vcc
	v_cmp_eq_u64_e32 vcc, 1, v[181:182]
	v_cndmask_b32_e64 v106, v106, v173, s[0:1]
	v_cndmask_b32_e64 v107, v107, v174, s[0:1]
	;; [unrolled: 1-line block ×3, first 2 shown]
	v_cmp_eq_u64_e64 s[0:1], 2, v[181:182]
	v_cndmask_b32_e64 v186, v82, v173, s[8:9]
	v_cndmask_b32_e64 v108, v108, v173, s[2:3]
	;; [unrolled: 1-line block ×4, first 2 shown]
	v_cndmask_b32_e32 v82, v111, v113, vcc
	v_cmp_eq_u64_e64 s[2:3], 3, v[181:182]
	v_cndmask_b32_e64 v188, v98, v173, s[4:5]
	v_cndmask_b32_e64 v179, v83, v174, s[8:9]
	;; [unrolled: 1-line block ×4, first 2 shown]
	v_cndmask_b32_e32 v83, v110, v112, vcc
	v_cmp_eq_u64_e64 s[4:5], 4, v[181:182]
	v_cndmask_b32_e64 v187, v100, v173, s[6:7]
	v_cndmask_b32_e64 v180, v101, v174, s[6:7]
	;; [unrolled: 1-line block ×4, first 2 shown]
	v_cmp_eq_u64_e64 s[6:7], 5, v[181:182]
	v_cndmask_b32_e64 v82, v82, v189, s[4:5]
	v_cndmask_b32_e64 v83, v83, v108, s[2:3]
	v_cmp_eq_u64_e64 s[8:9], 6, v[181:182]
	v_cndmask_b32_e64 v185, v84, v173, s[10:11]
	v_cndmask_b32_e64 v173, v85, v174, s[10:11]
	;; [unrolled: 1-line block ×4, first 2 shown]
	v_cmp_eq_u64_e64 s[10:11], 7, v[181:182]
	v_cndmask_b32_e64 v82, v82, v179, s[8:9]
	v_cndmask_b32_e64 v84, v83, v187, s[6:7]
	;; [unrolled: 1-line block ×5, first 2 shown]
	v_add_f64 v[82:83], v[82:83], -v[183:184]
	v_and_b32_e32 v84, -8, v215
	v_sub_co_u32_e64 v84, s[12:13], v175, v84
	v_subb_co_u32_e64 v85, s[12:13], v176, v221, s[12:13]
	v_cmp_eq_u64_e64 s[12:13], 0, v[181:182]
	v_fma_f64 v[98:99], v[207:208], v[169:170], v[162:163]
	v_cndmask_b32_e32 v112, v112, v82, vcc
	v_cndmask_b32_e32 v113, v113, v83, vcc
	v_cmp_eq_u64_e32 vcc, 1, v[84:85]
	v_cndmask_b32_e64 v106, v106, v82, s[0:1]
	v_cndmask_b32_e64 v107, v107, v83, s[0:1]
	;; [unrolled: 1-line block ×3, first 2 shown]
	v_cmp_eq_u64_e64 s[0:1], 2, v[84:85]
	v_fma_f64 v[100:101], v[203:204], v[171:172], v[167:168]
	v_cndmask_b32_e64 v162, v185, v82, s[10:11]
	v_cndmask_b32_e64 v163, v186, v82, s[8:9]
	;; [unrolled: 1-line block ×7, first 2 shown]
	v_cndmask_b32_e32 v82, v176, v113, vcc
	v_cmp_eq_u64_e64 s[2:3], 3, v[84:85]
	v_cndmask_b32_e64 v170, v173, v83, s[10:11]
	v_cndmask_b32_e64 v173, v179, v83, s[8:9]
	;; [unrolled: 1-line block ×5, first 2 shown]
	v_cndmask_b32_e32 v83, v169, v112, vcc
	v_cmp_eq_u64_e64 s[4:5], 4, v[84:85]
	v_cndmask_b32_e64 v82, v82, v109, s[2:3]
	v_cndmask_b32_e64 v83, v83, v106, s[0:1]
	v_cmp_eq_u64_e64 s[6:7], 5, v[84:85]
	v_cndmask_b32_e64 v82, v82, v175, s[4:5]
	v_cndmask_b32_e64 v83, v83, v108, s[2:3]
	;; [unrolled: 3-line block ×4, first 2 shown]
	v_cndmask_b32_e64 v83, v82, v170, s[10:11]
	v_cndmask_b32_e64 v82, v110, v163, s[8:9]
	;; [unrolled: 1-line block ×3, first 2 shown]
	v_add_f64 v[82:83], v[82:83], -v[100:101]
	v_add_co_u32_e64 v100, s[12:13], v177, v216
	v_addc_co_u32_e64 v101, s[12:13], 0, v178, s[12:13]
	v_and_b32_e32 v100, -8, v100
	v_sub_co_u32_e64 v110, s[12:13], v177, v100
	v_subb_co_u32_e64 v111, s[12:13], v178, v101, s[12:13]
	v_cmp_eq_u64_e64 s[12:13], 0, v[84:85]
	v_cndmask_b32_e32 v112, v112, v82, vcc
	v_cndmask_b32_e32 v113, v113, v83, vcc
	v_cmp_eq_u64_e32 vcc, 1, v[110:111]
	v_cndmask_b32_e64 v106, v106, v82, s[0:1]
	v_cndmask_b32_e64 v84, v170, v83, s[10:11]
	;; [unrolled: 1-line block ×5, first 2 shown]
	v_cmp_eq_u64_e64 s[0:1], 2, v[110:111]
	v_fma_f64 v[98:99], v[209:210], v[171:172], v[98:99]
	v_cndmask_b32_e64 v100, v162, v82, s[10:11]
	v_cndmask_b32_e64 v101, v163, v82, s[8:9]
	v_cndmask_b32_e64 v167, v167, v82, s[6:7]
	v_cndmask_b32_e64 v168, v168, v82, s[4:5]
	v_cndmask_b32_e64 v108, v108, v82, s[2:3]
	v_cndmask_b32_e64 v169, v169, v82, s[12:13]
	v_cndmask_b32_e64 v109, v109, v83, s[2:3]
	v_cndmask_b32_e32 v82, v173, v113, vcc
	v_cmp_eq_u64_e64 s[2:3], 3, v[110:111]
	v_cndmask_b32_e64 v171, v174, v83, s[6:7]
	v_cndmask_b32_e64 v172, v175, v83, s[4:5]
	;; [unrolled: 1-line block ×3, first 2 shown]
	v_cndmask_b32_e32 v83, v169, v112, vcc
	v_cmp_eq_u64_e64 s[4:5], 4, v[110:111]
	v_cndmask_b32_e64 v82, v82, v109, s[2:3]
	v_cndmask_b32_e64 v83, v83, v106, s[0:1]
	v_cmp_eq_u64_e64 s[6:7], 5, v[110:111]
	v_cndmask_b32_e64 v82, v82, v172, s[4:5]
	v_cndmask_b32_e64 v83, v83, v108, s[2:3]
	;; [unrolled: 3-line block ×4, first 2 shown]
	v_cndmask_b32_e64 v83, v82, v84, s[10:11]
	v_cndmask_b32_e64 v82, v85, v101, s[8:9]
	;; [unrolled: 1-line block ×3, first 2 shown]
	v_add_f64 v[162:163], v[82:83], -v[98:99]
	v_cndmask_b32_e32 v113, v113, v163, vcc
	v_cndmask_b32_e32 v112, v112, v162, vcc
	v_cmp_eq_u64_e32 vcc, 0, v[110:111]
	v_cndmask_b32_e64 v85, v84, v163, s[10:11]
	v_cndmask_b32_e64 v84, v100, v162, s[10:11]
	;; [unrolled: 1-line block ×12, first 2 shown]
	v_cndmask_b32_e32 v111, v173, v163, vcc
	v_cndmask_b32_e32 v110, v169, v162, vcc
.LBB0_20:                               ;   in Loop: Header=BB0_10 Depth=2
	s_or_b64 exec, exec, s[42:43]
	global_load_dwordx2 v[158:159], v[158:159], off offset:40
	v_mov_b32_e32 v162, s23
	s_waitcnt vmcnt(0)
	v_lshlrev_b64 v[158:159], 3, v[158:159]
	v_add_co_u32_e32 v158, vcc, s22, v158
	v_addc_co_u32_e32 v159, vcc, v162, v159, vcc
	global_load_dwordx2 v[160:161], v[160:161], off offset:40
	s_nop 0
	global_load_dwordx2 v[158:159], v[158:159], off
	s_waitcnt vmcnt(1)
	v_cmp_ne_u64_e32 vcc, 0, v[160:161]
	s_waitcnt vmcnt(0)
	v_cmp_lt_i64_e64 s[0:1], -1, v[158:159]
	s_and_b64 s[0:1], s[0:1], vcc
	s_and_saveexec_b64 s[42:43], s[0:1]
	s_cbranch_execz .LBB0_9
; %bb.21:                               ;   in Loop: Header=BB0_10 Depth=2
	v_lshlrev_b64 v[171:172], 5, v[158:159]
	v_mov_b32_e32 v161, s25
	v_add_co_u32_e32 v160, vcc, s24, v171
	v_addc_co_u32_e32 v161, vcc, v161, v172, vcc
	global_load_dwordx2 v[160:161], v[160:161], off
	v_mov_b32_e32 v173, s26
	v_mov_b32_e32 v174, s24
	v_mov_b32_e32 v162, s27
	v_mov_b32_e32 v163, s25
	v_mov_b32_e32 v177, s41
	v_lshlrev_b64 v[158:159], 8, v[158:159]
	v_mov_b32_e32 v179, s15
	v_mov_b32_e32 v211, s54
	s_waitcnt vmcnt(0)
	v_ashrrev_i32_e32 v167, 31, v161
	v_lshrrev_b32_e32 v167, 29, v167
	v_add_co_u32_e32 v160, vcc, v160, v167
	v_addc_co_u32_e32 v161, vcc, 0, v161, vcc
	v_ashrrev_i64 v[160:161], 3, v[160:161]
	v_cmp_eq_u64_e32 vcc, v[154:155], v[160:161]
	v_cndmask_b32_e32 v161, v174, v173, vcc
	v_cndmask_b32_e32 v160, v163, v162, vcc
	v_add_co_u32_e64 v167, s[0:1], v161, v171
	v_addc_co_u32_e64 v168, s[0:1], v160, v172, s[0:1]
	v_cndmask_b32_e32 v176, v162, v163, vcc
	global_load_dwordx4 v[160:163], v[167:168], off
	s_nop 0
	global_load_dwordx4 v[167:170], v[167:168], off offset:16
	v_cndmask_b32_e32 v173, v173, v174, vcc
	v_cndmask_b32_e32 v174, 0, v166, vcc
	v_add_co_u32_e32 v175, vcc, v173, v171
	v_addc_co_u32_e32 v176, vcc, v176, v172, vcc
	v_add_co_u32_e32 v180, vcc, s40, v174
	v_addc_co_u32_e32 v181, vcc, 0, v177, vcc
	global_load_dwordx4 v[171:174], v[175:176], off offset:16
	s_nop 0
	global_load_dwordx4 v[175:178], v[175:176], off
	v_add_co_u32_e32 v158, vcc, v180, v158
	v_addc_co_u32_e32 v159, vcc, v181, v159, vcc
	v_add_co_u32_e32 v158, vcc, s14, v158
	v_addc_co_u32_e32 v159, vcc, v159, v179, vcc
	global_load_dwordx4 v[179:182], v[158:159], off
	global_load_dwordx4 v[183:186], v[158:159], off offset:16
	global_load_dwordx4 v[187:190], v[158:159], off offset:32
	global_load_dwordx4 v[191:194], v[158:159], off offset:48
	global_load_dwordx4 v[195:198], v[158:159], off offset:64
	global_load_dwordx4 v[199:202], v[158:159], off offset:80
	global_load_dwordx4 v[203:206], v[158:159], off offset:112
	global_load_dwordx4 v[207:210], v[158:159], off offset:96
	s_waitcnt vmcnt(11)
	v_lshlrev_b64 v[158:159], 3, v[160:161]
	v_lshlrev_b64 v[160:161], 3, v[162:163]
	v_add_co_u32_e32 v158, vcc, s53, v158
	v_addc_co_u32_e32 v159, vcc, v211, v159, vcc
	global_load_dwordx2 v[158:159], v[158:159], off
	v_add_co_u32_e32 v160, vcc, s53, v160
	v_addc_co_u32_e32 v161, vcc, v211, v161, vcc
	global_load_dwordx2 v[160:161], v[160:161], off
	s_waitcnt vmcnt(12)
	v_lshlrev_b64 v[162:163], 3, v[167:168]
	v_lshlrev_b64 v[167:168], 3, v[169:170]
	v_add_co_u32_e32 v162, vcc, s53, v162
	v_addc_co_u32_e32 v163, vcc, v211, v163, vcc
	global_load_dwordx2 v[162:163], v[162:163], off
	v_add_co_u32_e32 v167, vcc, s53, v167
	v_addc_co_u32_e32 v168, vcc, v211, v168, vcc
	global_load_dwordx2 v[167:168], v[167:168], off
	s_waitcnt vmcnt(12)
	v_ashrrev_i32_e32 v169, 31, v176
	v_ashrrev_i32_e32 v170, 31, v178
	v_lshrrev_b32_e32 v213, 29, v169
	v_lshrrev_b32_e32 v214, 29, v170
	s_waitcnt vmcnt(11)
	v_mul_f64 v[169:170], v[146:147], v[179:180]
	v_mul_f64 v[179:180], v[146:147], v[181:182]
	v_add_co_u32_e32 v213, vcc, v175, v213
	v_addc_co_u32_e32 v215, vcc, 0, v176, vcc
	v_ashrrev_i32_e32 v211, 31, v172
	v_add_co_u32_e32 v214, vcc, v177, v214
	v_lshrrev_b32_e32 v211, 29, v211
	s_waitcnt vmcnt(10)
	v_mul_f64 v[181:182], v[146:147], v[183:184]
	v_addc_co_u32_e32 v216, vcc, 0, v178, vcc
	v_add_co_u32_e32 v211, vcc, v171, v211
	v_mul_f64 v[183:184], v[146:147], v[185:186]
	s_waitcnt vmcnt(9)
	v_mul_f64 v[185:186], v[146:147], v[187:188]
	v_mul_f64 v[187:188], v[146:147], v[189:190]
	s_waitcnt vmcnt(8)
	v_mul_f64 v[189:190], v[146:147], v[191:192]
	;; [unrolled: 3-line block ×4, first 2 shown]
	v_mul_f64 v[199:200], v[146:147], v[201:202]
	v_addc_co_u32_e32 v217, vcc, 0, v172, vcc
	s_waitcnt vmcnt(4)
	v_mul_f64 v[201:202], v[146:147], v[207:208]
	v_mul_f64 v[207:208], v[146:147], v[209:210]
	v_and_b32_e32 v209, -8, v213
	v_sub_co_u32_e32 v175, vcc, v175, v209
	v_subb_co_u32_e32 v176, vcc, v176, v215, vcc
	v_cmp_eq_u64_e32 vcc, 1, v[175:176]
	v_cmp_eq_u64_e64 s[0:1], 2, v[175:176]
	v_cndmask_b32_e32 v209, v111, v113, vcc
	v_cmp_eq_u64_e64 s[2:3], 3, v[175:176]
	v_cndmask_b32_e64 v209, v209, v107, s[0:1]
	v_cmp_eq_u64_e64 s[4:5], 4, v[175:176]
	v_cmp_eq_u64_e64 s[6:7], 5, v[175:176]
	;; [unrolled: 1-line block ×4, first 2 shown]
	v_and_b32_e32 v210, -8, v214
	v_sub_co_u32_e64 v177, s[12:13], v177, v210
	v_subb_co_u32_e64 v178, s[12:13], v178, v216, s[12:13]
	v_cmp_eq_u64_e64 s[12:13], 0, v[175:176]
	v_mul_f64 v[203:204], v[146:147], v[203:204]
	v_ashrrev_i32_e32 v212, 31, v174
	v_lshrrev_b32_e32 v212, 29, v212
	v_mul_f64 v[205:206], v[146:147], v[205:206]
	s_waitcnt vmcnt(3)
	v_fma_f64 v[169:170], v[169:170], v[158:159], 0
	s_waitcnt vmcnt(2)
	v_fma_f64 v[169:170], v[179:180], v[160:161], v[169:170]
	v_cndmask_b32_e64 v179, v209, v109, s[2:3]
	v_cndmask_b32_e32 v180, v110, v112, vcc
	v_cndmask_b32_e64 v209, v179, v99, s[4:5]
	v_cndmask_b32_e64 v213, v180, v106, s[0:1]
	v_fma_f64 v[179:180], v[185:186], v[158:159], 0
	s_waitcnt vmcnt(1)
	v_fma_f64 v[169:170], v[181:182], v[162:163], v[169:170]
	v_cndmask_b32_e64 v181, v209, v101, s[6:7]
	v_cndmask_b32_e64 v182, v213, v108, s[2:3]
	;; [unrolled: 1-line block ×4, first 2 shown]
	v_fma_f64 v[181:182], v[193:194], v[158:159], 0
	v_fma_f64 v[179:180], v[187:188], v[160:161], v[179:180]
	;; [unrolled: 1-line block ×3, first 2 shown]
	s_waitcnt vmcnt(0)
	v_fma_f64 v[169:170], v[183:184], v[167:168], v[169:170]
	v_cndmask_b32_e64 v183, v186, v100, s[6:7]
	v_cndmask_b32_e64 v183, v183, v82, s[8:9]
	;; [unrolled: 1-line block ×4, first 2 shown]
	v_fma_f64 v[181:182], v[195:196], v[160:161], v[181:182]
	v_fma_f64 v[179:180], v[189:190], v[162:163], v[179:180]
	;; [unrolled: 1-line block ×3, first 2 shown]
	v_add_f64 v[169:170], v[183:184], -v[169:170]
	v_fma_f64 v[160:161], v[197:198], v[162:163], v[181:182]
	v_fma_f64 v[179:180], v[191:192], v[167:168], v[179:180]
	v_cndmask_b32_e32 v112, v112, v169, vcc
	v_cndmask_b32_e32 v113, v113, v170, vcc
	v_cmp_eq_u64_e32 vcc, 1, v[177:178]
	v_cndmask_b32_e64 v106, v106, v169, s[0:1]
	v_cndmask_b32_e64 v107, v107, v170, s[0:1]
	;; [unrolled: 1-line block ×3, first 2 shown]
	v_cmp_eq_u64_e64 s[0:1], 2, v[177:178]
	v_cndmask_b32_e64 v182, v82, v169, s[8:9]
	v_cndmask_b32_e64 v108, v108, v169, s[2:3]
	;; [unrolled: 1-line block ×4, first 2 shown]
	v_cndmask_b32_e32 v82, v111, v113, vcc
	v_cmp_eq_u64_e64 s[2:3], 3, v[177:178]
	v_cndmask_b32_e64 v184, v98, v169, s[4:5]
	v_cndmask_b32_e64 v175, v83, v170, s[8:9]
	;; [unrolled: 1-line block ×4, first 2 shown]
	v_cndmask_b32_e32 v83, v110, v112, vcc
	v_cmp_eq_u64_e64 s[4:5], 4, v[177:178]
	v_cndmask_b32_e64 v183, v100, v169, s[6:7]
	v_cndmask_b32_e64 v176, v101, v170, s[6:7]
	;; [unrolled: 1-line block ×4, first 2 shown]
	v_cmp_eq_u64_e64 s[6:7], 5, v[177:178]
	v_cndmask_b32_e64 v82, v82, v185, s[4:5]
	v_cndmask_b32_e64 v83, v83, v108, s[2:3]
	v_cmp_eq_u64_e64 s[8:9], 6, v[177:178]
	v_cndmask_b32_e64 v181, v84, v169, s[10:11]
	v_cndmask_b32_e64 v169, v85, v170, s[10:11]
	;; [unrolled: 1-line block ×4, first 2 shown]
	v_cmp_eq_u64_e64 s[10:11], 7, v[177:178]
	v_cndmask_b32_e64 v82, v82, v175, s[8:9]
	v_cndmask_b32_e64 v84, v83, v183, s[6:7]
	;; [unrolled: 1-line block ×5, first 2 shown]
	v_add_f64 v[82:83], v[82:83], -v[179:180]
	v_and_b32_e32 v84, -8, v211
	v_sub_co_u32_e64 v84, s[12:13], v171, v84
	v_subb_co_u32_e64 v85, s[12:13], v172, v217, s[12:13]
	v_cmp_eq_u64_e64 s[12:13], 0, v[177:178]
	v_fma_f64 v[98:99], v[203:204], v[162:163], v[158:159]
	v_cndmask_b32_e32 v112, v112, v82, vcc
	v_cndmask_b32_e32 v113, v113, v83, vcc
	v_cmp_eq_u64_e32 vcc, 1, v[84:85]
	v_cndmask_b32_e64 v106, v106, v82, s[0:1]
	v_cndmask_b32_e64 v107, v107, v83, s[0:1]
	v_cndmask_b32_e64 v172, v111, v83, s[12:13]
	v_cmp_eq_u64_e64 s[0:1], 2, v[84:85]
	v_fma_f64 v[100:101], v[199:200], v[167:168], v[160:161]
	v_cndmask_b32_e64 v158, v181, v82, s[10:11]
	v_cndmask_b32_e64 v159, v182, v82, s[8:9]
	;; [unrolled: 1-line block ×7, first 2 shown]
	v_cndmask_b32_e32 v82, v172, v113, vcc
	v_cmp_eq_u64_e64 s[2:3], 3, v[84:85]
	v_cndmask_b32_e64 v163, v169, v83, s[10:11]
	v_cndmask_b32_e64 v169, v175, v83, s[8:9]
	;; [unrolled: 1-line block ×5, first 2 shown]
	v_cndmask_b32_e32 v83, v162, v112, vcc
	v_cmp_eq_u64_e64 s[4:5], 4, v[84:85]
	v_cndmask_b32_e64 v82, v82, v109, s[2:3]
	v_cndmask_b32_e64 v83, v83, v106, s[0:1]
	v_cmp_eq_u64_e64 s[6:7], 5, v[84:85]
	v_cndmask_b32_e64 v82, v82, v171, s[4:5]
	v_cndmask_b32_e64 v83, v83, v108, s[2:3]
	;; [unrolled: 3-line block ×4, first 2 shown]
	v_cndmask_b32_e64 v83, v82, v163, s[10:11]
	v_cndmask_b32_e64 v82, v110, v159, s[8:9]
	;; [unrolled: 1-line block ×3, first 2 shown]
	v_add_f64 v[82:83], v[82:83], -v[100:101]
	v_add_co_u32_e64 v100, s[12:13], v173, v212
	v_addc_co_u32_e64 v101, s[12:13], 0, v174, s[12:13]
	v_and_b32_e32 v100, -8, v100
	v_sub_co_u32_e64 v110, s[12:13], v173, v100
	v_subb_co_u32_e64 v111, s[12:13], v174, v101, s[12:13]
	v_cmp_eq_u64_e64 s[12:13], 0, v[84:85]
	v_cndmask_b32_e32 v112, v112, v82, vcc
	v_cndmask_b32_e32 v113, v113, v83, vcc
	v_cmp_eq_u64_e32 vcc, 1, v[110:111]
	v_cndmask_b32_e64 v106, v106, v82, s[0:1]
	v_cndmask_b32_e64 v84, v163, v83, s[10:11]
	v_cndmask_b32_e64 v163, v169, v83, s[8:9]
	v_cndmask_b32_e64 v107, v107, v83, s[0:1]
	v_cndmask_b32_e64 v169, v172, v83, s[12:13]
	v_cmp_eq_u64_e64 s[0:1], 2, v[110:111]
	v_fma_f64 v[98:99], v[205:206], v[167:168], v[98:99]
	v_cndmask_b32_e64 v100, v158, v82, s[10:11]
	v_cndmask_b32_e64 v101, v159, v82, s[8:9]
	;; [unrolled: 1-line block ×7, first 2 shown]
	v_cndmask_b32_e32 v82, v169, v113, vcc
	v_cmp_eq_u64_e64 s[2:3], 3, v[110:111]
	v_cndmask_b32_e64 v167, v170, v83, s[6:7]
	v_cndmask_b32_e64 v168, v171, v83, s[4:5]
	;; [unrolled: 1-line block ×3, first 2 shown]
	v_cndmask_b32_e32 v83, v162, v112, vcc
	v_cmp_eq_u64_e64 s[4:5], 4, v[110:111]
	v_cndmask_b32_e64 v82, v82, v109, s[2:3]
	v_cndmask_b32_e64 v83, v83, v106, s[0:1]
	v_cmp_eq_u64_e64 s[6:7], 5, v[110:111]
	v_cndmask_b32_e64 v82, v82, v168, s[4:5]
	v_cndmask_b32_e64 v83, v83, v108, s[2:3]
	;; [unrolled: 3-line block ×4, first 2 shown]
	v_cndmask_b32_e64 v83, v82, v84, s[10:11]
	v_cndmask_b32_e64 v82, v85, v101, s[8:9]
	;; [unrolled: 1-line block ×3, first 2 shown]
	v_add_f64 v[158:159], v[82:83], -v[98:99]
	v_cndmask_b32_e32 v113, v113, v159, vcc
	v_cndmask_b32_e32 v112, v112, v158, vcc
	v_cmp_eq_u64_e32 vcc, 0, v[110:111]
	v_cndmask_b32_e64 v85, v84, v159, s[10:11]
	v_cndmask_b32_e64 v84, v100, v158, s[10:11]
	;; [unrolled: 1-line block ×12, first 2 shown]
	v_cndmask_b32_e32 v111, v169, v159, vcc
	v_cndmask_b32_e32 v110, v162, v158, vcc
	s_branch .LBB0_9
.LBB0_22:
	s_endpgm
	.section	.rodata,"a",@progbits
	.p2align	6, 0x0
	.amdhsa_kernel _ZN8rajaperf4apps10FEMSweep3DILm64EEEvPdS2_S2_S2_S2_S2_lllPlS3_S3_S3_S3_S3_S3_S3_S3_
		.amdhsa_group_segment_fixed_size 0
		.amdhsa_private_segment_fixed_size 0
		.amdhsa_kernarg_size 144
		.amdhsa_user_sgpr_count 6
		.amdhsa_user_sgpr_private_segment_buffer 1
		.amdhsa_user_sgpr_dispatch_ptr 0
		.amdhsa_user_sgpr_queue_ptr 0
		.amdhsa_user_sgpr_kernarg_segment_ptr 1
		.amdhsa_user_sgpr_dispatch_id 0
		.amdhsa_user_sgpr_flat_scratch_init 0
		.amdhsa_user_sgpr_private_segment_size 0
		.amdhsa_uses_dynamic_stack 0
		.amdhsa_system_sgpr_private_segment_wavefront_offset 0
		.amdhsa_system_sgpr_workgroup_id_x 1
		.amdhsa_system_sgpr_workgroup_id_y 1
		.amdhsa_system_sgpr_workgroup_id_z 0
		.amdhsa_system_sgpr_workgroup_info 0
		.amdhsa_system_vgpr_workitem_id 0
		.amdhsa_next_free_vgpr 233
		.amdhsa_next_free_sgpr 58
		.amdhsa_reserve_vcc 1
		.amdhsa_reserve_flat_scratch 0
		.amdhsa_float_round_mode_32 0
		.amdhsa_float_round_mode_16_64 0
		.amdhsa_float_denorm_mode_32 3
		.amdhsa_float_denorm_mode_16_64 3
		.amdhsa_dx10_clamp 1
		.amdhsa_ieee_mode 1
		.amdhsa_fp16_overflow 0
		.amdhsa_exception_fp_ieee_invalid_op 0
		.amdhsa_exception_fp_denorm_src 0
		.amdhsa_exception_fp_ieee_div_zero 0
		.amdhsa_exception_fp_ieee_overflow 0
		.amdhsa_exception_fp_ieee_underflow 0
		.amdhsa_exception_fp_ieee_inexact 0
		.amdhsa_exception_int_div_zero 0
	.end_amdhsa_kernel
	.section	.text._ZN8rajaperf4apps10FEMSweep3DILm64EEEvPdS2_S2_S2_S2_S2_lllPlS3_S3_S3_S3_S3_S3_S3_S3_,"axG",@progbits,_ZN8rajaperf4apps10FEMSweep3DILm64EEEvPdS2_S2_S2_S2_S2_lllPlS3_S3_S3_S3_S3_S3_S3_S3_,comdat
.Lfunc_end0:
	.size	_ZN8rajaperf4apps10FEMSweep3DILm64EEEvPdS2_S2_S2_S2_S2_lllPlS3_S3_S3_S3_S3_S3_S3_S3_, .Lfunc_end0-_ZN8rajaperf4apps10FEMSweep3DILm64EEEvPdS2_S2_S2_S2_S2_lllPlS3_S3_S3_S3_S3_S3_S3_S3_
                                        ; -- End function
	.set _ZN8rajaperf4apps10FEMSweep3DILm64EEEvPdS2_S2_S2_S2_S2_lllPlS3_S3_S3_S3_S3_S3_S3_S3_.num_vgpr, 233
	.set _ZN8rajaperf4apps10FEMSweep3DILm64EEEvPdS2_S2_S2_S2_S2_lllPlS3_S3_S3_S3_S3_S3_S3_S3_.num_agpr, 0
	.set _ZN8rajaperf4apps10FEMSweep3DILm64EEEvPdS2_S2_S2_S2_S2_lllPlS3_S3_S3_S3_S3_S3_S3_S3_.numbered_sgpr, 58
	.set _ZN8rajaperf4apps10FEMSweep3DILm64EEEvPdS2_S2_S2_S2_S2_lllPlS3_S3_S3_S3_S3_S3_S3_S3_.num_named_barrier, 0
	.set _ZN8rajaperf4apps10FEMSweep3DILm64EEEvPdS2_S2_S2_S2_S2_lllPlS3_S3_S3_S3_S3_S3_S3_S3_.private_seg_size, 0
	.set _ZN8rajaperf4apps10FEMSweep3DILm64EEEvPdS2_S2_S2_S2_S2_lllPlS3_S3_S3_S3_S3_S3_S3_S3_.uses_vcc, 1
	.set _ZN8rajaperf4apps10FEMSweep3DILm64EEEvPdS2_S2_S2_S2_S2_lllPlS3_S3_S3_S3_S3_S3_S3_S3_.uses_flat_scratch, 0
	.set _ZN8rajaperf4apps10FEMSweep3DILm64EEEvPdS2_S2_S2_S2_S2_lllPlS3_S3_S3_S3_S3_S3_S3_S3_.has_dyn_sized_stack, 0
	.set _ZN8rajaperf4apps10FEMSweep3DILm64EEEvPdS2_S2_S2_S2_S2_lllPlS3_S3_S3_S3_S3_S3_S3_S3_.has_recursion, 0
	.set _ZN8rajaperf4apps10FEMSweep3DILm64EEEvPdS2_S2_S2_S2_S2_lllPlS3_S3_S3_S3_S3_S3_S3_S3_.has_indirect_call, 0
	.section	.AMDGPU.csdata,"",@progbits
; Kernel info:
; codeLenInByte = 20836
; TotalNumSgprs: 62
; NumVgprs: 233
; ScratchSize: 0
; MemoryBound: 0
; FloatMode: 240
; IeeeMode: 1
; LDSByteSize: 0 bytes/workgroup (compile time only)
; SGPRBlocks: 7
; VGPRBlocks: 58
; NumSGPRsForWavesPerEU: 62
; NumVGPRsForWavesPerEU: 233
; Occupancy: 1
; WaveLimiterHint : 1
; COMPUTE_PGM_RSRC2:SCRATCH_EN: 0
; COMPUTE_PGM_RSRC2:USER_SGPR: 6
; COMPUTE_PGM_RSRC2:TRAP_HANDLER: 0
; COMPUTE_PGM_RSRC2:TGID_X_EN: 1
; COMPUTE_PGM_RSRC2:TGID_Y_EN: 1
; COMPUTE_PGM_RSRC2:TGID_Z_EN: 0
; COMPUTE_PGM_RSRC2:TIDIG_COMP_CNT: 0
	.section	.text._ZN4RAJA34launch_new_reduce_global_fcn_fixedIZN8rajaperf4apps8FEMSWEEP17runHipVariantImplILm64EEEvNS1_9VariantIDEEUlNS_14LaunchContextTINS_3hip33LaunchContextIndicesAndDimsPolicyINS7_14IndicesAndDimsILb0ELb0ELb0ELb0EEEEEEEE_Li64ENS_4expt15ForallParamPackIJEEEEEvT_T1_,"axG",@progbits,_ZN4RAJA34launch_new_reduce_global_fcn_fixedIZN8rajaperf4apps8FEMSWEEP17runHipVariantImplILm64EEEvNS1_9VariantIDEEUlNS_14LaunchContextTINS_3hip33LaunchContextIndicesAndDimsPolicyINS7_14IndicesAndDimsILb0ELb0ELb0ELb0EEEEEEEE_Li64ENS_4expt15ForallParamPackIJEEEEEvT_T1_,comdat
	.protected	_ZN4RAJA34launch_new_reduce_global_fcn_fixedIZN8rajaperf4apps8FEMSWEEP17runHipVariantImplILm64EEEvNS1_9VariantIDEEUlNS_14LaunchContextTINS_3hip33LaunchContextIndicesAndDimsPolicyINS7_14IndicesAndDimsILb0ELb0ELb0ELb0EEEEEEEE_Li64ENS_4expt15ForallParamPackIJEEEEEvT_T1_ ; -- Begin function _ZN4RAJA34launch_new_reduce_global_fcn_fixedIZN8rajaperf4apps8FEMSWEEP17runHipVariantImplILm64EEEvNS1_9VariantIDEEUlNS_14LaunchContextTINS_3hip33LaunchContextIndicesAndDimsPolicyINS7_14IndicesAndDimsILb0ELb0ELb0ELb0EEEEEEEE_Li64ENS_4expt15ForallParamPackIJEEEEEvT_T1_
	.globl	_ZN4RAJA34launch_new_reduce_global_fcn_fixedIZN8rajaperf4apps8FEMSWEEP17runHipVariantImplILm64EEEvNS1_9VariantIDEEUlNS_14LaunchContextTINS_3hip33LaunchContextIndicesAndDimsPolicyINS7_14IndicesAndDimsILb0ELb0ELb0ELb0EEEEEEEE_Li64ENS_4expt15ForallParamPackIJEEEEEvT_T1_
	.p2align	8
	.type	_ZN4RAJA34launch_new_reduce_global_fcn_fixedIZN8rajaperf4apps8FEMSWEEP17runHipVariantImplILm64EEEvNS1_9VariantIDEEUlNS_14LaunchContextTINS_3hip33LaunchContextIndicesAndDimsPolicyINS7_14IndicesAndDimsILb0ELb0ELb0ELb0EEEEEEEE_Li64ENS_4expt15ForallParamPackIJEEEEEvT_T1_,@function
_ZN4RAJA34launch_new_reduce_global_fcn_fixedIZN8rajaperf4apps8FEMSWEEP17runHipVariantImplILm64EEEvNS1_9VariantIDEEUlNS_14LaunchContextTINS_3hip33LaunchContextIndicesAndDimsPolicyINS7_14IndicesAndDimsILb0ELb0ELb0ELb0EEEEEEEE_Li64ENS_4expt15ForallParamPackIJEEEEEvT_T1_: ; @_ZN4RAJA34launch_new_reduce_global_fcn_fixedIZN8rajaperf4apps8FEMSWEEP17runHipVariantImplILm64EEEvNS1_9VariantIDEEUlNS_14LaunchContextTINS_3hip33LaunchContextIndicesAndDimsPolicyINS7_14IndicesAndDimsILb0ELb0ELb0ELb0EEEEEEEE_Li64ENS_4expt15ForallParamPackIJEEEEEvT_T1_
; %bb.0:
	s_load_dwordx16 s[36:51], s[4:5], 0x8
	s_mov_b32 s2, s7
	s_mov_b32 s3, 0
	s_lshl_b64 s[0:1], s[2:3], 3
	v_mov_b32_e32 v1, 0
	s_waitcnt lgkmcnt(0)
	s_add_u32 s12, s38, s0
	s_addc_u32 s13, s39, s1
	s_add_u32 s38, s40, s0
	s_addc_u32 s39, s41, s1
	s_mul_i32 s0, s47, s7
	s_mul_hi_u32 s1, s46, s7
	s_add_i32 s11, s1, s0
	s_mul_i32 s10, s46, s7
	s_lshl_b64 s[8:9], s[10:11], 3
	s_add_u32 s0, s44, s8
	s_addc_u32 s1, s45, s9
	s_load_dwordx2 s[0:1], s[0:1], 0x0
	v_mov_b32_e32 v2, 0x41d00000
	s_waitcnt lgkmcnt(0)
	s_add_u32 s0, s0, s10
	s_addc_u32 s1, s1, s11
	s_lshl_b64 s[0:1], s[0:1], 9
	s_add_u32 s0, s42, s0
	s_addc_u32 s1, s43, s1
	s_load_dwordx2 s[0:1], s[0:1], 0x0
	s_waitcnt lgkmcnt(0)
	v_cmp_nlt_f64_e64 s[14:15], |s[0:1]|, v[1:2]
	s_and_b64 vcc, exec, s[14:15]
	s_cbranch_vccz .LBB1_2
; %bb.1:
	v_trig_preop_f64 v[1:2], |s[0:1]|, 0
	v_mov_b32_e32 v3, 0
	v_mov_b32_e32 v4, 0x7b000000
	;; [unrolled: 1-line block ×3, first 2 shown]
	v_ldexp_f64 v[5:6], |s[0:1]|, v5
	v_cmp_ge_f64_e64 vcc, |s[0:1]|, v[3:4]
	v_trig_preop_f64 v[3:4], |s[0:1]|, 1
	s_and_b32 s7, s1, 0x7fffffff
	v_mov_b32_e32 v7, s7
	v_mov_b32_e32 v8, s0
	v_trig_preop_f64 v[13:14], |s[0:1]|, 2
	s_mov_b32 s14, 0
	s_mov_b32 s15, 0x7ff00000
	v_cndmask_b32_e32 v6, v7, v6, vcc
	v_cndmask_b32_e32 v5, v8, v5, vcc
	v_mul_f64 v[7:8], v[1:2], v[5:6]
	v_mul_f64 v[9:10], v[3:4], v[5:6]
	v_fma_f64 v[1:2], v[1:2], v[5:6], -v[7:8]
	v_mul_f64 v[19:20], v[13:14], v[5:6]
	v_fma_f64 v[3:4], v[3:4], v[5:6], -v[9:10]
	v_add_f64 v[11:12], v[9:10], v[1:2]
	v_fma_f64 v[5:6], v[13:14], v[5:6], -v[19:20]
	v_add_f64 v[15:16], v[11:12], -v[9:10]
	v_add_f64 v[21:22], v[7:8], v[11:12]
	v_add_f64 v[17:18], v[11:12], -v[15:16]
	v_add_f64 v[1:2], v[1:2], -v[15:16]
	v_add_f64 v[15:16], v[19:20], v[3:4]
	v_add_f64 v[7:8], v[21:22], -v[7:8]
	v_add_f64 v[9:10], v[9:10], -v[17:18]
	v_ldexp_f64 v[17:18], v[21:22], -2
	v_add_f64 v[7:8], v[11:12], -v[7:8]
	v_add_f64 v[1:2], v[1:2], v[9:10]
	v_fract_f64_e32 v[9:10], v[17:18]
	v_cmp_neq_f64_e64 vcc, |v[17:18]|, s[14:15]
	s_mov_b32 s14, s3
	v_add_f64 v[11:12], v[15:16], v[1:2]
	v_ldexp_f64 v[9:10], v[9:10], 2
	v_add_f64 v[17:18], v[7:8], v[11:12]
	v_cndmask_b32_e32 v10, 0, v10, vcc
	v_cndmask_b32_e32 v9, 0, v9, vcc
	v_add_f64 v[23:24], v[11:12], -v[15:16]
	v_add_f64 v[21:22], v[17:18], v[9:10]
	v_add_f64 v[7:8], v[17:18], -v[7:8]
	v_add_f64 v[27:28], v[11:12], -v[23:24]
	;; [unrolled: 1-line block ×3, first 2 shown]
	v_cmp_gt_f64_e32 vcc, 0, v[21:22]
	v_add_f64 v[21:22], v[15:16], -v[19:20]
	v_add_f64 v[7:8], v[11:12], -v[7:8]
	s_and_b64 s[16:17], vcc, exec
	s_cselect_b32 s15, 0x40100000, 0
	v_add_f64 v[9:10], v[9:10], s[14:15]
	v_add_f64 v[25:26], v[15:16], -v[21:22]
	v_add_f64 v[3:4], v[3:4], -v[21:22]
	;; [unrolled: 1-line block ×3, first 2 shown]
	v_add_f64 v[29:30], v[17:18], v[9:10]
	v_add_f64 v[21:22], v[19:20], -v[25:26]
	v_add_f64 v[1:2], v[1:2], v[15:16]
	v_cvt_i32_f64_e32 v25, v[29:30]
	v_add_f64 v[3:4], v[3:4], v[21:22]
	v_cvt_f64_i32_e32 v[23:24], v25
	v_readfirstlane_b32 s3, v25
	v_add_f64 v[9:10], v[9:10], -v[23:24]
	v_add_f64 v[1:2], v[3:4], v[1:2]
	v_add_f64 v[3:4], v[17:18], v[9:10]
	;; [unrolled: 1-line block ×3, first 2 shown]
	v_add_f64 v[5:6], v[3:4], -v[9:10]
	v_cmp_le_f64_e32 vcc, 0.5, v[3:4]
	v_add_f64 v[1:2], v[7:8], v[1:2]
	v_add_f64 v[5:6], v[17:18], -v[5:6]
	s_cmp_lg_u64 vcc, 0
	s_addc_u32 s3, s3, 0
	s_and_b64 s[16:17], vcc, exec
	s_cselect_b32 s15, 0x3ff00000, 0
	v_add_f64 v[3:4], v[3:4], -s[14:15]
	s_mov_b32 s14, 0x54442d18
	s_mov_b32 s15, 0x3ff921fb
	v_add_f64 v[1:2], v[1:2], v[5:6]
	s_mov_b32 s16, 0x33145c07
	s_mov_b32 s17, 0x3c91a626
	v_add_f64 v[5:6], v[3:4], v[1:2]
	v_mul_f64 v[7:8], v[5:6], s[14:15]
	v_add_f64 v[3:4], v[5:6], -v[3:4]
	v_fma_f64 v[9:10], v[5:6], s[14:15], -v[7:8]
	v_add_f64 v[1:2], v[1:2], -v[3:4]
	v_fma_f64 v[3:4], v[5:6], s[16:17], v[9:10]
	v_fma_f64 v[4:5], v[1:2], s[14:15], v[3:4]
	v_add_f64 v[2:3], v[7:8], v[4:5]
	v_add_f64 v[6:7], v[2:3], -v[7:8]
	v_add_f64 v[4:5], v[4:5], -v[6:7]
	s_load_dwordx2 s[34:35], s[12:13], 0x0
	s_cbranch_execz .LBB1_3
	s_branch .LBB1_4
.LBB1_2:
                                        ; implicit-def: $sgpr3
                                        ; implicit-def: $vgpr2_vgpr3
                                        ; implicit-def: $vgpr4_vgpr5
	s_load_dwordx2 s[34:35], s[12:13], 0x0
.LBB1_3:
	v_mov_b32_e32 v1, 0x6dc9c883
	v_mov_b32_e32 v2, 0x3fe45f30
	v_mul_f64 v[1:2], |s[0:1]|, v[1:2]
	s_mov_b32 s12, 0x54442d18
	s_mov_b32 s13, 0xbff921fb
	;; [unrolled: 1-line block ×4, first 2 shown]
	v_rndne_f64_e32 v[6:7], v[1:2]
	v_mov_b32_e32 v2, s1
	v_mov_b32_e32 v1, s0
	v_fma_f64 v[1:2], v[6:7], s[12:13], |v[1:2]|
	v_mul_f64 v[3:4], v[6:7], s[14:15]
	s_mov_b32 s12, 0x252049c0
	s_mov_b32 s13, 0xb97b839a
	v_fma_f64 v[12:13], v[6:7], s[14:15], v[1:2]
	v_add_f64 v[8:9], v[1:2], v[3:4]
	s_mov_b32 s15, 0x3c91a626
	v_add_f64 v[10:11], v[1:2], -v[8:9]
	v_add_f64 v[8:9], v[8:9], -v[12:13]
	v_add_f64 v[1:2], v[10:11], v[3:4]
	v_fma_f64 v[3:4], v[6:7], s[14:15], v[3:4]
	v_add_f64 v[1:2], v[8:9], v[1:2]
	v_add_f64 v[1:2], v[1:2], -v[3:4]
	v_fma_f64 v[4:5], v[6:7], s[12:13], v[1:2]
	v_cvt_i32_f64_e32 v1, v[6:7]
	v_readfirstlane_b32 s3, v1
	v_add_f64 v[2:3], v[12:13], v[4:5]
	v_add_f64 v[8:9], v[2:3], -v[12:13]
	v_add_f64 v[4:5], v[4:5], -v[8:9]
.LBB1_4:
	s_waitcnt lgkmcnt(0)
	v_cmp_lt_i64_e64 s[12:13], s[34:35], 1
	s_and_b64 vcc, exec, s[12:13]
	s_cbranch_vccnz .LBB1_22
; %bb.5:
	v_mul_f64 v[6:7], v[2:3], v[2:3]
	s_mov_b32 s12, 0xf9a43bb8
	v_mov_b32_e32 v10, 0xb42fdfa7
	v_mov_b32_e32 v11, 0xbe5ae600
	s_mov_b32 s13, 0x3de5e0b2
	s_mov_b32 s14, 0x796cde01
	v_mov_b32_e32 v8, 0x9037ab78
	v_mov_b32_e32 v9, 0x3e21eeb6
	v_fma_f64 v[10:11], v[6:7], s[12:13], v[10:11]
	s_mov_b32 s12, 0x46cc5e42
	s_mov_b32 s13, 0xbda907db
	;; [unrolled: 1-line block ×3, first 2 shown]
	v_fma_f64 v[8:9], v[6:7], s[12:13], v[8:9]
	v_mul_f64 v[12:13], v[6:7], 0.5
	s_mov_b32 s16, 0xa17f65f6
	s_mov_b32 s17, 0xbe927e4f
	v_fma_f64 v[10:11], v[6:7], v[10:11], s[14:15]
	s_mov_b32 s14, 0x19e83e5c
	s_mov_b32 s15, 0xbf2a01a0
	;; [unrolled: 1-line block ×3, first 2 shown]
	v_fma_f64 v[8:9], v[6:7], v[8:9], s[16:17]
	v_add_f64 v[14:15], -v[12:13], 1.0
	s_mov_b32 s13, 0x3efa01a0
	v_mul_f64 v[16:17], v[4:5], 0.5
	v_fma_f64 v[10:11], v[6:7], v[10:11], s[14:15]
	s_mov_b32 s14, 0x11110bb3
	s_mov_b32 s15, 0x3f811111
	v_mul_f64 v[18:19], v[2:3], -v[6:7]
	v_fma_f64 v[8:9], v[6:7], v[8:9], s[12:13]
	v_add_f64 v[20:21], -v[14:15], 1.0
	s_mov_b32 s40, 0x16c16967
	s_mov_b32 s41, 0xbf56c16c
	v_fma_f64 v[10:11], v[6:7], v[10:11], s[14:15]
	s_mov_b32 s53, 0x3fa55555
	s_mov_b32 s52, 0x55555555
	s_load_dwordx16 s[16:31], s[4:5], 0x48
	s_load_dwordx4 s[12:15], s[4:5], 0x88
	v_fma_f64 v[8:9], v[6:7], v[8:9], s[40:41]
	v_add_f64 v[12:13], v[20:21], -v[12:13]
	s_load_dwordx2 s[4:5], s[38:39], 0x0
	s_bitcmp0_b32 s3, 0
	v_fma_f64 v[10:11], v[18:19], v[10:11], v[16:17]
	v_mul_f64 v[16:17], v[6:7], v[6:7]
	v_mov_b32_e32 v20, 0x1f8
	s_cselect_b64 vcc, -1, 0
	v_fma_f64 v[8:9], v[6:7], v[8:9], s[52:53]
	v_fma_f64 v[12:13], v[2:3], -v[4:5], v[12:13]
	s_mov_b32 s53, 0xbfc55555
	s_lshl_b32 s3, s3, 30
	v_fma_f64 v[4:5], v[6:7], v[10:11], -v[4:5]
	s_xor_b32 s3, s3, s1
	v_cmp_class_f64_e64 s[0:1], s[0:1], v20
	s_waitcnt lgkmcnt(0)
	s_lshl_b64 s[4:5], s[4:5], 3
	s_and_b32 s3, s3, 0x80000000
	v_fma_f64 v[6:7], v[16:17], v[8:9], v[12:13]
	s_mul_i32 s7, s2, s47
	s_mul_hi_u32 s41, s2, s46
	v_fma_f64 v[4:5], v[18:19], s[52:53], v[4:5]
	s_mul_i32 s52, s36, s11
	s_mul_hi_u32 s53, s36, s10
	s_add_u32 s33, s48, s4
	s_mul_i32 s55, s37, s10
	v_add_f64 v[6:7], v[14:15], v[6:7]
	s_addc_u32 s48, s49, s5
	s_add_i32 s7, s41, s7
	v_add_f64 v[2:3], v[2:3], -v[4:5]
	s_add_i32 s41, s53, s52
	s_lshl_b64 s[4:5], s[10:11], 6
	s_add_i32 s41, s41, s55
	v_mov_b32_e32 v21, 0x7ff80000
	s_add_u32 s49, s50, s4
	s_addc_u32 s50, s51, s5
	s_mul_i32 s56, s11, 48
	v_cndmask_b32_e32 v3, v7, v3, vcc
	v_cndmask_b32_e32 v2, v6, v2, vcc
	v_xor_b32_e32 v3, s3, v3
	v_cndmask_b32_e64 v2, 0, v2, s[0:1]
	v_cndmask_b32_e64 v3, v21, v3, s[0:1]
	s_lshl_b64 s[0:1], s[10:11], 9
	s_mul_hi_u32 s57, s10, 48
	s_add_u32 s51, s42, s0
	s_mul_i32 s58, s10, 48
	s_addc_u32 s52, s43, s1
	s_add_i32 s57, s57, s56
	s_add_u32 s22, s22, s58
	s_mul_i32 s0, s47, s6
	s_mul_hi_u32 s1, s46, s6
	s_addc_u32 s23, s23, s57
	s_add_i32 s1, s1, s0
	s_mul_i32 s0, s46, s6
	s_lshl_b64 s[4:5], s[0:1], 3
	s_mul_i32 s54, s2, s46
	s_add_u32 s46, s12, s4
	v_add_f64 v[2:3], v[2:3], -2.0
	s_addc_u32 s47, s13, s5
	s_lshl_b64 s[0:1], s[0:1], 6
	s_add_u32 s3, s30, s0
	s_addc_u32 s4, s31, s1
	s_mul_i32 s0, s54, s37
	s_mul_hi_u32 s1, s54, s36
	s_mul_i32 s7, s7, s36
	s_add_i32 s0, s1, s0
	s_add_i32 s1, s0, s7
	s_mul_i32 s0, s54, s36
	s_lshl_b64 s[0:1], s[0:1], 6
	s_mul_i32 s40, s36, s10
	s_add_u32 s53, s3, s0
	s_addc_u32 s54, s4, s1
	s_lshl_b64 s[0:1], s[40:41], 6
	v_max_f64 v[146:147], v[2:3], 0
	s_add_u32 s55, s3, s0
	s_addc_u32 s56, s4, s1
	s_mul_i32 s0, s2, s29
	s_mul_hi_u32 s1, s2, s28
	s_add_i32 s1, s1, s0
	s_mul_i32 s0, s2, s28
	s_lshl_b64 s[28:29], s[0:1], 8
	s_add_u32 s0, s44, s8
	v_lshlrev_b32_e32 v2, 3, v0
	s_addc_u32 s1, s45, s9
	v_mov_b32_e32 v3, s1
	v_add_co_u32_e32 v164, vcc, s0, v2
	s_mov_b64 s[38:39], 0
	v_mov_b32_e32 v1, 0
	v_addc_co_u32_e32 v165, vcc, 0, v3, vcc
	v_mov_b32_e32 v166, 0x80
	s_mov_b64 s[30:31], 0
	s_branch .LBB1_7
.LBB1_6:                                ;   in Loop: Header=BB1_7 Depth=1
	s_or_b64 exec, exec, s[40:41]
	s_add_u32 s30, s36, s30
	s_addc_u32 s31, s37, s31
	s_add_u32 s38, s38, 1
	s_addc_u32 s39, s39, 0
	s_cmp_lg_u64 s[38:39], s[34:35]
	; wave barrier
	s_cbranch_scc0 .LBB1_22
.LBB1_7:                                ; =>This Loop Header: Depth=1
                                        ;     Child Loop BB1_10 Depth 2
	s_lshl_b64 s[0:1], s[38:39], 3
	s_add_u32 s0, s33, s0
	s_addc_u32 s1, s48, s1
	s_load_dwordx2 s[36:37], s[0:1], 0x0
	s_waitcnt lgkmcnt(0)
	v_cmp_gt_i64_e32 vcc, s[36:37], v[0:1]
	s_and_saveexec_b64 s[40:41], vcc
	s_cbranch_execz .LBB1_6
; %bb.8:                                ;   in Loop: Header=BB1_7 Depth=1
	s_lshl_b64 s[0:1], s[30:31], 3
	v_mov_b32_e32 v2, s1
	v_add_co_u32_e32 v148, vcc, s0, v164
	v_mov_b32_e32 v151, v1
	v_addc_co_u32_e32 v149, vcc, v165, v2, vcc
	s_mov_b64 s[42:43], 0
	v_mov_b32_e32 v150, v0
	s_branch .LBB1_10
.LBB1_9:                                ;   in Loop: Header=BB1_10 Depth=2
	s_or_b64 exec, exec, s[44:45]
	v_lshlrev_b64 v[154:155], 3, v[154:155]
	v_mov_b32_e32 v158, s47
	v_add_co_u32_e32 v154, vcc, s46, v154
	v_addc_co_u32_e32 v155, vcc, v158, v155, vcc
	global_load_dwordx2 v[154:155], v[154:155], off
	v_mov_b32_e32 v158, s15
	v_add_co_u32_e32 v156, vcc, s14, v156
	v_addc_co_u32_e32 v157, vcc, v158, v157, vcc
	global_load_dwordx4 v[158:161], v[156:157], off
	global_load_dwordx4 v[167:170], v[156:157], off offset:16
	global_load_dwordx4 v[171:174], v[156:157], off offset:32
	;; [unrolled: 1-line block ×3, first 2 shown]
	s_waitcnt vmcnt(3)
	v_fma_f64 v[142:143], v[154:155], v[158:159], v[142:143]
	v_fma_f64 v[144:145], v[154:155], v[160:161], v[144:145]
	s_waitcnt vmcnt(2)
	v_fma_f64 v[162:163], v[154:155], v[167:168], v[138:139]
	v_fma_f64 v[140:141], v[154:155], v[169:170], v[140:141]
	s_waitcnt vmcnt(1)
	v_fma_f64 v[179:180], v[154:155], v[171:172], v[134:135]
	v_fma_f64 v[181:182], v[154:155], v[173:174], v[136:137]
	s_waitcnt vmcnt(0)
	v_fma_f64 v[175:176], v[154:155], v[175:176], v[130:131]
	v_fma_f64 v[177:178], v[154:155], v[177:178], v[132:133]
	global_load_dwordx4 v[132:135], v[156:157], off offset:112
	global_load_dwordx4 v[136:139], v[156:157], off offset:96
	;; [unrolled: 1-line block ×4, first 2 shown]
	v_div_scale_f64 v[130:131], s[0:1], v[142:143], v[142:143], v[144:145]
	v_div_scale_f64 v[171:172], s[0:1], v[142:143], v[142:143], v[162:163]
	;; [unrolled: 1-line block ×7, first 2 shown]
	v_div_scale_f64 v[205:206], vcc, v[144:145], v[142:143], v[144:145]
	v_rcp_f64_e32 v[191:192], v[130:131]
	v_div_scale_f64 v[207:208], s[0:1], v[162:163], v[142:143], v[162:163]
	v_rcp_f64_e32 v[193:194], v[171:172]
	v_rcp_f64_e32 v[195:196], v[173:174]
	v_div_scale_f64 v[209:210], s[2:3], v[140:141], v[142:143], v[140:141]
	v_rcp_f64_e32 v[197:198], v[183:184]
	;; [unrolled: 3-line block ×3, first 2 shown]
	v_rcp_f64_e32 v[203:204], v[189:190]
	v_div_scale_f64 v[213:214], s[6:7], v[181:182], v[142:143], v[181:182]
	v_div_scale_f64 v[229:230], s[8:9], v[175:176], v[142:143], v[175:176]
	v_fma_f64 v[215:216], -v[130:131], v[191:192], 1.0
	v_fma_f64 v[217:218], -v[171:172], v[193:194], 1.0
	;; [unrolled: 1-line block ×5, first 2 shown]
	v_fma_f64 v[191:192], v[191:192], v[215:216], v[191:192]
	v_div_scale_f64 v[215:216], s[10:11], v[177:178], v[142:143], v[177:178]
	v_fma_f64 v[225:226], -v[187:188], v[201:202], 1.0
	v_fma_f64 v[227:228], -v[189:190], v[203:204], 1.0
	v_fma_f64 v[193:194], v[193:194], v[217:218], v[193:194]
	v_fma_f64 v[195:196], v[195:196], v[219:220], v[195:196]
	;; [unrolled: 1-line block ×4, first 2 shown]
	v_fma_f64 v[217:218], -v[130:131], v[191:192], 1.0
	v_fma_f64 v[201:202], v[201:202], v[225:226], v[201:202]
	v_fma_f64 v[203:204], v[203:204], v[227:228], v[203:204]
	v_fma_f64 v[219:220], -v[171:172], v[193:194], 1.0
	v_fma_f64 v[221:222], -v[173:174], v[195:196], 1.0
	;; [unrolled: 1-line block ×4, first 2 shown]
	v_fma_f64 v[191:192], v[191:192], v[217:218], v[191:192]
	v_fma_f64 v[227:228], -v[187:188], v[201:202], 1.0
	v_fma_f64 v[231:232], -v[189:190], v[203:204], 1.0
	v_fma_f64 v[193:194], v[193:194], v[219:220], v[193:194]
	v_fma_f64 v[195:196], v[195:196], v[221:222], v[195:196]
	v_fma_f64 v[197:198], v[197:198], v[223:224], v[197:198]
	v_fma_f64 v[199:200], v[199:200], v[225:226], v[199:200]
	v_mul_f64 v[217:218], v[205:206], v[191:192]
	v_fma_f64 v[201:202], v[201:202], v[227:228], v[201:202]
	v_fma_f64 v[203:204], v[203:204], v[231:232], v[203:204]
	v_mul_f64 v[219:220], v[207:208], v[193:194]
	v_mul_f64 v[221:222], v[209:210], v[195:196]
	;; [unrolled: 1-line block ×4, first 2 shown]
	v_fma_f64 v[130:131], -v[130:131], v[217:218], v[205:206]
	v_mul_f64 v[227:228], v[229:230], v[201:202]
	v_mul_f64 v[231:232], v[215:216], v[203:204]
	v_fma_f64 v[171:172], -v[171:172], v[219:220], v[207:208]
	v_fma_f64 v[173:174], -v[173:174], v[221:222], v[209:210]
	;; [unrolled: 1-line block ×4, first 2 shown]
	v_div_fmas_f64 v[191:192], v[130:131], v[191:192], v[217:218]
	s_mov_b64 vcc, s[0:1]
	v_fma_f64 v[187:188], -v[187:188], v[227:228], v[229:230]
	v_fma_f64 v[189:190], -v[189:190], v[231:232], v[215:216]
	v_div_fmas_f64 v[193:194], v[171:172], v[193:194], v[219:220]
	s_mov_b64 vcc, s[2:3]
	v_div_fmas_f64 v[195:196], v[173:174], v[195:196], v[221:222]
	s_mov_b64 vcc, s[4:5]
	;; [unrolled: 2-line block ×5, first 2 shown]
	v_div_fmas_f64 v[189:190], v[189:190], v[203:204], v[231:232]
	s_waitcnt vmcnt(0)
	v_fma_f64 v[130:131], v[154:155], v[167:168], v[126:127]
	v_fma_f64 v[167:168], v[154:155], v[169:170], v[128:129]
	;; [unrolled: 1-line block ×4, first 2 shown]
	v_div_fixup_f64 v[118:119], v[191:192], v[142:143], v[144:145]
	v_div_fixup_f64 v[120:121], v[193:194], v[142:143], v[162:163]
	v_fma_f64 v[132:133], v[154:155], v[132:133], v[114:115]
	v_div_fixup_f64 v[114:115], v[195:196], v[142:143], v[140:141]
	v_fma_f64 v[158:159], v[154:155], v[158:159], v[122:123]
	;; [unrolled: 2-line block ×3, first 2 shown]
	v_div_fixup_f64 v[124:125], v[185:186], v[142:143], v[181:182]
	global_load_dwordx4 v[171:174], v[156:157], off offset:128
	v_div_fixup_f64 v[126:127], v[187:188], v[142:143], v[175:176]
	v_fma_f64 v[136:137], v[118:119], v[130:131], 0
	v_div_fixup_f64 v[128:129], v[189:190], v[142:143], v[177:178]
	v_fma_f64 v[140:141], v[120:121], v[130:131], 0
	v_fma_f64 v[162:163], v[114:115], v[130:131], 0
	;; [unrolled: 1-line block ×6, first 2 shown]
	v_add_f64 v[116:117], v[167:168], -v[136:137]
	v_fma_f64 v[181:182], v[128:129], v[130:131], 0
	v_add_f64 v[183:184], v[158:159], -v[140:141]
	global_load_dwordx4 v[134:137], v[156:157], off offset:144
	v_add_f64 v[162:163], v[160:161], -v[162:163]
	v_add_f64 v[185:186], v[169:170], -v[175:176]
	;; [unrolled: 1-line block ×4, first 2 shown]
	global_load_dwordx4 v[138:141], v[156:157], off offset:160
	global_load_dwordx4 v[158:161], v[156:157], off offset:176
	v_add_f64 v[144:145], v[144:145], -v[181:182]
	v_div_scale_f64 v[181:182], s[0:1], v[116:117], v[116:117], v[183:184]
	v_div_scale_f64 v[189:190], s[0:1], v[116:117], v[116:117], v[162:163]
	;; [unrolled: 1-line block ×6, first 2 shown]
	v_div_scale_f64 v[201:202], vcc, v[183:184], v[116:117], v[183:184]
	v_div_scale_f64 v[203:204], s[0:1], v[162:163], v[116:117], v[162:163]
	v_rcp_f64_e32 v[132:133], v[181:182]
	v_div_scale_f64 v[205:206], s[2:3], v[185:186], v[116:117], v[185:186]
	v_rcp_f64_e32 v[167:168], v[189:190]
	v_rcp_f64_e32 v[169:170], v[191:192]
	v_div_scale_f64 v[209:210], s[4:5], v[187:188], v[116:117], v[187:188]
	v_rcp_f64_e32 v[175:176], v[193:194]
	v_rcp_f64_e32 v[177:178], v[195:196]
	;; [unrolled: 1-line block ×3, first 2 shown]
	v_fma_f64 v[207:208], -v[181:182], v[132:133], 1.0
	v_fma_f64 v[211:212], -v[189:190], v[167:168], 1.0
	v_fma_f64 v[213:214], -v[191:192], v[169:170], 1.0
	v_fma_f64 v[215:216], -v[193:194], v[175:176], 1.0
	v_fma_f64 v[217:218], -v[195:196], v[177:178], 1.0
	v_fma_f64 v[132:133], v[132:133], v[207:208], v[132:133]
	v_fma_f64 v[219:220], -v[197:198], v[199:200], 1.0
	v_fma_f64 v[211:212], v[167:168], v[211:212], v[167:168]
	v_fma_f64 v[213:214], v[169:170], v[213:214], v[169:170]
	v_div_scale_f64 v[207:208], s[6:7], v[179:180], v[116:117], v[179:180]
	v_fma_f64 v[215:216], v[175:176], v[215:216], v[175:176]
	v_fma_f64 v[217:218], v[177:178], v[217:218], v[177:178]
	v_fma_f64 v[167:168], -v[181:182], v[132:133], 1.0
	v_fma_f64 v[199:200], v[199:200], v[219:220], v[199:200]
	v_fma_f64 v[221:222], -v[189:190], v[211:212], 1.0
	v_fma_f64 v[223:224], -v[191:192], v[213:214], 1.0
	v_div_scale_f64 v[219:220], s[8:9], v[144:145], v[116:117], v[144:145]
	v_fma_f64 v[225:226], -v[193:194], v[215:216], 1.0
	v_fma_f64 v[227:228], -v[195:196], v[217:218], 1.0
	v_fma_f64 v[231:232], v[132:133], v[167:168], v[132:133]
	v_fma_f64 v[229:230], -v[197:198], v[199:200], 1.0
	v_fma_f64 v[211:212], v[211:212], v[221:222], v[211:212]
	v_fma_f64 v[213:214], v[213:214], v[223:224], v[213:214]
	s_waitcnt vmcnt(3)
	v_fma_f64 v[132:133], v[154:155], v[171:172], v[102:103]
	v_fma_f64 v[104:105], v[154:155], v[173:174], v[104:105]
	;; [unrolled: 1-line block ×4, first 2 shown]
	v_mul_f64 v[102:103], v[201:202], v[231:232]
	v_fma_f64 v[199:200], v[199:200], v[229:230], v[199:200]
	v_mul_f64 v[171:172], v[203:204], v[211:212]
	v_mul_f64 v[173:174], v[205:206], v[213:214]
	global_load_dwordx4 v[167:170], v[156:157], off offset:208
	global_load_dwordx4 v[175:178], v[156:157], off offset:192
	v_mul_f64 v[221:222], v[209:210], v[215:216]
	v_mul_f64 v[223:224], v[207:208], v[217:218]
	s_waitcnt vmcnt(4)
	v_fma_f64 v[227:228], v[154:155], v[134:135], v[94:95]
	v_mul_f64 v[225:226], v[219:220], v[199:200]
	v_fma_f64 v[94:95], -v[181:182], v[102:103], v[201:202]
	v_fma_f64 v[181:182], -v[189:190], v[171:172], v[203:204]
	;; [unrolled: 1-line block ×3, first 2 shown]
	v_fma_f64 v[134:135], v[118:119], v[132:133], 0
	v_fma_f64 v[191:192], -v[193:194], v[221:222], v[209:210]
	v_fma_f64 v[193:194], -v[195:196], v[223:224], v[207:208]
	s_waitcnt vmcnt(3)
	v_fma_f64 v[138:139], v[154:155], v[138:139], v[90:91]
	v_fma_f64 v[195:196], -v[197:198], v[225:226], v[219:220]
	v_div_fmas_f64 v[94:95], v[94:95], v[231:232], v[102:103]
	s_mov_b64 vcc, s[0:1]
	v_div_fmas_f64 v[102:103], v[181:182], v[211:212], v[171:172]
	s_mov_b64 vcc, s[2:3]
	;; [unrolled: 2-line block ×5, first 2 shown]
	v_div_fmas_f64 v[189:190], v[195:196], v[199:200], v[225:226]
	v_fma_f64 v[140:141], v[154:155], v[140:141], v[92:93]
	v_fma_f64 v[191:192], v[120:121], v[132:133], 0
	v_fma_f64 v[193:194], v[114:115], v[132:133], 0
	v_add_f64 v[134:135], v[104:105], -v[134:135]
	v_fma_f64 v[195:196], v[122:123], v[132:133], 0
	v_div_fixup_f64 v[90:91], v[94:95], v[116:117], v[183:184]
	v_fma_f64 v[136:137], v[154:155], v[136:137], v[96:97]
	v_div_fixup_f64 v[92:93], v[102:103], v[116:117], v[162:163]
	;; [unrolled: 2-line block ×5, first 2 shown]
	s_waitcnt vmcnt(2)
	v_fma_f64 v[88:89], v[154:155], v[160:161], v[88:89]
	v_div_fixup_f64 v[104:105], v[189:190], v[116:117], v[144:145]
	v_fma_f64 v[144:145], v[90:91], v[134:135], v[191:192]
	v_fma_f64 v[173:174], v[92:93], v[134:135], v[193:194]
	;; [unrolled: 1-line block ×7, first 2 shown]
	v_add_f64 v[86:87], v[227:228], -v[144:145]
	v_add_f64 v[144:145], v[136:137], -v[173:174]
	v_add_f64 v[183:184], v[138:139], -v[179:180]
	v_add_f64 v[185:186], v[140:141], -v[160:161]
	global_load_dwordx4 v[138:141], v[156:157], off offset:224
	v_add_f64 v[162:163], v[158:159], -v[162:163]
	global_load_dwordx4 v[158:161], v[156:157], off offset:240
	v_add_f64 v[187:188], v[88:89], -v[171:172]
	v_div_scale_f64 v[189:190], s[0:1], v[86:87], v[86:87], v[144:145]
	v_div_scale_f64 v[191:192], s[0:1], v[86:87], v[86:87], v[183:184]
	;; [unrolled: 1-line block ×8, first 2 shown]
	v_rcp_f64_e32 v[136:137], v[189:190]
	v_rcp_f64_e32 v[171:172], v[191:192]
	v_rcp_f64_e32 v[173:174], v[193:194]
	s_waitcnt vmcnt(3)
	v_fma_f64 v[74:75], v[154:155], v[167:168], v[74:75]
	v_rcp_f64_e32 v[179:180], v[195:196]
	s_waitcnt vmcnt(2)
	v_fma_f64 v[88:89], v[154:155], v[175:176], v[78:79]
	v_rcp_f64_e32 v[181:182], v[197:198]
	v_div_scale_f64 v[175:176], vcc, v[144:145], v[86:87], v[144:145]
	v_fma_f64 v[80:81], v[154:155], v[177:178], v[80:81]
	v_fma_f64 v[169:170], v[154:155], v[169:170], v[76:77]
	;; [unrolled: 1-line block ×3, first 2 shown]
	v_fma_f64 v[78:79], -v[189:190], v[136:137], 1.0
	v_fma_f64 v[199:200], -v[191:192], v[171:172], 1.0
	;; [unrolled: 1-line block ×5, first 2 shown]
	v_fma_f64 v[78:79], v[136:137], v[78:79], v[136:137]
	v_fma_f64 v[136:137], v[171:172], v[199:200], v[171:172]
	;; [unrolled: 1-line block ×5, first 2 shown]
	v_fma_f64 v[211:212], -v[189:190], v[78:79], 1.0
	v_fma_f64 v[215:216], -v[191:192], v[136:137], 1.0
	v_div_scale_f64 v[205:206], s[4:5], v[162:163], v[86:87], v[162:163]
	v_fma_f64 v[217:218], -v[193:194], v[199:200], 1.0
	v_fma_f64 v[219:220], -v[195:196], v[201:202], 1.0
	global_load_dwordx4 v[171:174], v[156:157], off offset:272
	global_load_dwordx4 v[179:182], v[156:157], off offset:256
	v_fma_f64 v[221:222], -v[197:198], v[203:204], 1.0
	v_fma_f64 v[78:79], v[78:79], v[211:212], v[78:79]
	v_fma_f64 v[177:178], v[136:137], v[215:216], v[136:137]
	;; [unrolled: 1-line block ×7, first 2 shown]
	v_mul_f64 v[167:168], v[175:176], v[78:79]
	v_mul_f64 v[215:216], v[207:208], v[177:178]
	v_add_f64 v[136:137], v[80:81], -v[136:137]
	v_fma_f64 v[221:222], v[114:115], v[88:89], 0
	v_mul_f64 v[80:81], v[209:210], v[199:200]
	v_mul_f64 v[217:218], v[205:206], v[201:202]
	;; [unrolled: 1-line block ×3, first 2 shown]
	v_fma_f64 v[175:176], -v[189:190], v[167:168], v[175:176]
	v_fma_f64 v[191:192], -v[191:192], v[215:216], v[207:208]
	v_fma_f64 v[189:190], v[122:123], v[88:89], 0
	v_fma_f64 v[207:208], v[90:91], v[136:137], v[211:212]
	v_fma_f64 v[193:194], -v[193:194], v[80:81], v[209:210]
	v_fma_f64 v[195:196], -v[195:196], v[217:218], v[205:206]
	s_waitcnt vmcnt(3)
	v_fma_f64 v[138:139], v[154:155], v[138:139], v[70:71]
	v_fma_f64 v[197:198], -v[197:198], v[219:220], v[213:214]
	v_div_fmas_f64 v[78:79], v[175:176], v[78:79], v[167:168]
	s_mov_b64 vcc, s[0:1]
	v_div_fmas_f64 v[167:168], v[191:192], v[177:178], v[215:216]
	s_mov_b64 vcc, s[2:3]
	;; [unrolled: 2-line block ×4, first 2 shown]
	v_div_fmas_f64 v[177:178], v[197:198], v[203:204], v[219:220]
	v_fma_f64 v[191:192], v[126:127], v[88:89], 0
	v_fma_f64 v[193:194], v[128:129], v[88:89], 0
	;; [unrolled: 1-line block ×4, first 2 shown]
	v_add_f64 v[197:198], v[74:75], -v[207:208]
	v_fma_f64 v[72:73], v[154:155], v[140:141], v[72:73]
	s_waitcnt vmcnt(2)
	v_fma_f64 v[66:67], v[154:155], v[158:159], v[66:67]
	v_div_fixup_f64 v[70:71], v[78:79], v[86:87], v[144:145]
	v_fma_f64 v[144:145], v[96:97], v[136:137], v[76:77]
	v_div_fixup_f64 v[74:75], v[167:168], v[86:87], v[183:184]
	;; [unrolled: 2-line block ×5, first 2 shown]
	v_fma_f64 v[162:163], v[70:71], v[197:198], v[195:196]
	v_fma_f64 v[175:176], v[74:75], v[197:198], v[189:190]
	;; [unrolled: 1-line block ×5, first 2 shown]
	v_add_f64 v[162:163], v[169:170], -v[162:163]
	v_add_f64 v[175:176], v[138:139], -v[175:176]
	;; [unrolled: 1-line block ×3, first 2 shown]
	global_load_dwordx4 v[138:141], v[156:157], off offset:304
	v_add_f64 v[144:145], v[66:67], -v[144:145]
	v_add_f64 v[177:178], v[68:69], -v[158:159]
	global_load_dwordx4 v[66:69], v[156:157], off offset:288
	v_div_scale_f64 v[183:184], s[0:1], v[162:163], v[162:163], v[175:176]
	v_div_scale_f64 v[185:186], s[0:1], v[162:163], v[162:163], v[72:73]
	;; [unrolled: 1-line block ×5, first 2 shown]
	global_load_dwordx4 v[158:161], v[156:157], off offset:336
	global_load_dwordx4 v[167:170], v[156:157], off offset:320
	s_waitcnt vmcnt(5)
	v_fma_f64 v[58:59], v[154:155], v[171:172], v[58:59]
	s_waitcnt vmcnt(4)
	v_fma_f64 v[179:180], v[154:155], v[179:180], v[62:63]
	v_fma_f64 v[64:65], v[154:155], v[181:182], v[64:65]
	v_fma_f64 v[60:61], v[154:155], v[173:174], v[60:61]
	v_rcp_f64_e32 v[191:192], v[183:184]
	v_rcp_f64_e32 v[193:194], v[185:186]
	;; [unrolled: 1-line block ×3, first 2 shown]
	v_fma_f64 v[171:172], v[118:119], v[179:180], 0
	v_rcp_f64_e32 v[199:200], v[189:190]
	v_fma_f64 v[173:174], v[120:121], v[179:180], 0
	v_fma_f64 v[213:214], v[126:127], v[179:180], 0
	;; [unrolled: 1-line block ×3, first 2 shown]
	v_add_f64 v[171:172], v[64:65], -v[171:172]
	v_fma_f64 v[62:63], -v[183:184], v[191:192], 1.0
	v_fma_f64 v[181:182], -v[185:186], v[193:194], 1.0
	;; [unrolled: 1-line block ×3, first 2 shown]
	v_fma_f64 v[173:174], v[90:91], v[171:172], v[173:174]
	v_fma_f64 v[203:204], -v[189:190], v[199:200], 1.0
	v_fma_f64 v[62:63], v[191:192], v[62:63], v[191:192]
	v_div_scale_f64 v[191:192], vcc, v[175:176], v[162:163], v[175:176]
	v_fma_f64 v[181:182], v[193:194], v[181:182], v[193:194]
	v_fma_f64 v[195:196], v[195:196], v[201:202], v[195:196]
	v_div_scale_f64 v[193:194], s[0:1], v[72:73], v[162:163], v[72:73]
	v_fma_f64 v[199:200], v[199:200], v[203:204], v[199:200]
	v_fma_f64 v[201:202], -v[183:184], v[62:63], 1.0
	v_div_scale_f64 v[203:204], s[2:3], v[144:145], v[162:163], v[144:145]
	v_fma_f64 v[205:206], -v[185:186], v[181:182], 1.0
	v_fma_f64 v[209:210], -v[187:188], v[195:196], 1.0
	v_add_f64 v[173:174], v[58:59], -v[173:174]
	v_fma_f64 v[211:212], -v[189:190], v[199:200], 1.0
	v_fma_f64 v[62:63], v[62:63], v[201:202], v[62:63]
	v_fma_f64 v[201:202], v[114:115], v[179:180], 0
	;; [unrolled: 1-line block ×6, first 2 shown]
	v_mul_f64 v[205:206], v[191:192], v[62:63]
	v_fma_f64 v[199:200], v[122:123], v[179:180], 0
	v_mul_f64 v[211:212], v[193:194], v[181:182]
	v_mul_f64 v[215:216], v[203:204], v[64:65]
	;; [unrolled: 1-line block ×3, first 2 shown]
	v_fma_f64 v[183:184], -v[183:184], v[205:206], v[191:192]
	v_fma_f64 v[191:192], v[92:93], v[171:172], v[201:202]
	v_fma_f64 v[185:186], -v[185:186], v[211:212], v[193:194]
	v_fma_f64 v[58:59], -v[187:188], v[215:216], v[203:204]
	v_fma_f64 v[193:194], v[94:95], v[171:172], v[199:200]
	s_waitcnt vmcnt(3)
	v_fma_f64 v[50:51], v[154:155], v[138:139], v[50:51]
	v_fma_f64 v[187:188], -v[189:190], v[217:218], v[207:208]
	v_div_fmas_f64 v[183:184], v[183:184], v[62:63], v[205:206]
	s_mov_b64 vcc, s[0:1]
	s_waitcnt vmcnt(2)
	v_fma_f64 v[54:55], v[154:155], v[66:67], v[54:55]
	v_div_fmas_f64 v[181:182], v[185:186], v[181:182], v[211:212]
	s_mov_b64 vcc, s[2:3]
	v_div_fmas_f64 v[189:190], v[58:59], v[64:65], v[215:216]
	s_mov_b64 vcc, s[4:5]
	v_div_fmas_f64 v[187:188], v[187:188], v[195:196], v[217:218]
	v_fma_f64 v[185:186], v[96:97], v[171:172], v[209:210]
	v_fma_f64 v[58:59], v[70:71], v[173:174], v[191:192]
	;; [unrolled: 1-line block ×5, first 2 shown]
	global_load_dwordx4 v[62:65], v[156:157], off offset:352
	v_fma_f64 v[56:57], v[154:155], v[68:69], v[56:57]
	v_fma_f64 v[52:53], v[154:155], v[140:141], v[52:53]
	;; [unrolled: 1-line block ×3, first 2 shown]
	v_add_f64 v[199:200], v[60:61], -v[58:59]
	v_div_fixup_f64 v[58:59], v[183:184], v[162:163], v[175:176]
	v_div_fixup_f64 v[60:61], v[181:182], v[162:163], v[72:73]
	v_fma_f64 v[66:67], v[78:79], v[173:174], v[191:192]
	v_div_fixup_f64 v[72:73], v[189:190], v[162:163], v[144:145]
	v_fma_f64 v[144:145], v[80:81], v[173:174], v[195:196]
	v_div_fixup_f64 v[175:176], v[187:188], v[162:163], v[177:178]
	s_waitcnt vmcnt(1)
	v_fma_f64 v[167:168], v[154:155], v[167:168], v[46:47]
	v_fma_f64 v[48:49], v[154:155], v[169:170], v[48:49]
	;; [unrolled: 1-line block ×10, first 2 shown]
	v_add_f64 v[68:69], v[54:55], -v[68:69]
	v_add_f64 v[140:141], v[56:57], -v[177:178]
	v_fma_f64 v[158:159], v[114:115], v[167:168], 0
	v_add_f64 v[66:67], v[50:51], -v[66:67]
	v_fma_f64 v[207:208], v[128:129], v[167:168], 0
	v_add_f64 v[138:139], v[52:53], -v[138:139]
	global_load_dwordx4 v[50:53], v[156:157], off offset:368
	v_add_f64 v[169:170], v[48:49], -v[169:170]
	v_div_scale_f64 v[144:145], s[0:1], v[68:69], v[68:69], v[140:141]
	v_div_scale_f64 v[177:178], s[0:1], v[68:69], v[68:69], v[66:67]
	;; [unrolled: 1-line block ×3, first 2 shown]
	v_div_scale_f64 v[191:192], vcc, v[140:141], v[68:69], v[140:141]
	v_div_scale_f64 v[195:196], s[0:1], v[66:67], v[68:69], v[66:67]
	v_div_scale_f64 v[203:204], s[2:3], v[138:139], v[68:69], v[138:139]
	v_fma_f64 v[185:186], v[90:91], v[169:170], v[185:186]
	v_fma_f64 v[158:159], v[92:93], v[169:170], v[158:159]
	v_rcp_f64_e32 v[54:55], v[144:145]
	v_rcp_f64_e32 v[56:57], v[177:178]
	v_rcp_f64_e32 v[46:47], v[181:182]
	v_add_f64 v[42:43], v[42:43], -v[185:186]
	v_fma_f64 v[185:186], v[124:125], v[167:168], 0
	v_fma_f64 v[158:159], v[70:71], v[42:43], v[158:159]
	v_fma_f64 v[185:186], v[96:97], v[169:170], v[185:186]
	v_fma_f64 v[183:184], -v[144:145], v[54:55], 1.0
	v_fma_f64 v[187:188], -v[177:178], v[56:57], 1.0
	;; [unrolled: 1-line block ×3, first 2 shown]
	v_add_f64 v[44:45], v[44:45], -v[158:159]
	v_fma_f64 v[158:159], v[104:105], v[169:170], v[207:208]
	v_fma_f64 v[183:184], v[54:55], v[183:184], v[54:55]
	;; [unrolled: 1-line block ×4, first 2 shown]
	global_load_dwordx4 v[46:49], v[156:157], off offset:400
	global_load_dwordx4 v[54:57], v[156:157], off offset:384
	v_fma_f64 v[158:159], v[80:81], v[42:43], v[158:159]
	v_fma_f64 v[193:194], -v[144:145], v[183:184], 1.0
	v_fma_f64 v[201:202], -v[177:178], v[187:188], 1.0
	s_waitcnt vmcnt(3)
	v_fma_f64 v[38:39], v[154:155], v[62:63], v[38:39]
	v_fma_f64 v[205:206], -v[181:182], v[189:190], 1.0
	v_fma_f64 v[64:65], v[154:155], v[64:65], v[40:41]
	v_fma_f64 v[183:184], v[183:184], v[193:194], v[183:184]
	;; [unrolled: 1-line block ×6, first 2 shown]
	v_mul_f64 v[62:63], v[191:192], v[183:184]
	v_mul_f64 v[193:194], v[195:196], v[160:161]
	v_fma_f64 v[187:188], v[94:95], v[169:170], v[187:188]
	v_mul_f64 v[205:206], v[203:204], v[189:190]
	v_fma_f64 v[144:145], -v[144:145], v[62:63], v[191:192]
	v_fma_f64 v[191:192], v[102:103], v[169:170], v[201:202]
	v_fma_f64 v[177:178], -v[177:178], v[193:194], v[195:196]
	v_fma_f64 v[187:188], v[74:75], v[42:43], v[187:188]
	v_fma_f64 v[181:182], -v[181:182], v[205:206], v[203:204]
	s_waitcnt vmcnt(2)
	v_fma_f64 v[34:35], v[154:155], v[50:51], v[34:35]
	v_fma_f64 v[36:37], v[154:155], v[52:53], v[36:37]
	v_div_fmas_f64 v[62:63], v[144:145], v[183:184], v[62:63]
	s_mov_b64 vcc, s[0:1]
	v_div_fmas_f64 v[144:145], v[177:178], v[160:161], v[193:194]
	s_mov_b64 vcc, s[2:3]
	v_div_fmas_f64 v[160:161], v[181:182], v[189:190], v[205:206]
	v_fma_f64 v[177:178], v[76:77], v[42:43], v[185:186]
	v_fma_f64 v[181:182], v[78:79], v[42:43], v[191:192]
	;; [unrolled: 1-line block ×5, first 2 shown]
	v_add_f64 v[183:184], v[38:39], -v[183:184]
	v_div_fixup_f64 v[62:63], v[62:63], v[68:69], v[140:141]
	v_fma_f64 v[140:141], v[175:176], v[44:45], v[158:159]
	v_div_fixup_f64 v[66:67], v[144:145], v[68:69], v[66:67]
	global_load_dwordx4 v[38:41], v[156:157], off offset:416
	v_div_fixup_f64 v[138:139], v[160:161], v[68:69], v[138:139]
	v_fma_f64 v[50:51], v[62:63], v[183:184], v[177:178]
	v_fma_f64 v[144:145], v[66:67], v[183:184], v[181:182]
	;; [unrolled: 1-line block ×3, first 2 shown]
	v_add_f64 v[50:51], v[64:65], -v[50:51]
	v_add_f64 v[34:35], v[34:35], -v[144:145]
	;; [unrolled: 1-line block ×3, first 2 shown]
	v_div_scale_f64 v[52:53], s[0:1], v[50:51], v[50:51], v[34:35]
	v_div_scale_f64 v[64:65], s[0:1], v[50:51], v[50:51], v[36:37]
	s_waitcnt vmcnt(1)
	v_fma_f64 v[54:55], v[154:155], v[54:55], v[30:31]
	v_fma_f64 v[56:57], v[154:155], v[56:57], v[32:33]
	global_load_dwordx4 v[30:33], v[156:157], off offset:432
	v_fma_f64 v[26:27], v[154:155], v[46:47], v[26:27]
	v_div_scale_f64 v[181:182], s[0:1], v[36:37], v[50:51], v[36:37]
	v_fma_f64 v[28:29], v[154:155], v[48:49], v[28:29]
	v_fma_f64 v[158:159], v[118:119], v[54:55], 0
	;; [unrolled: 1-line block ×5, first 2 shown]
	v_rcp_f64_e32 v[140:141], v[52:53]
	v_rcp_f64_e32 v[144:145], v[64:65]
	v_add_f64 v[56:57], v[56:57], -v[158:159]
	v_fma_f64 v[160:161], v[90:91], v[56:57], v[160:161]
	v_fma_f64 v[48:49], v[96:97], v[56:57], v[48:49]
	v_fma_f64 v[158:159], -v[52:53], v[140:141], 1.0
	v_fma_f64 v[46:47], -v[64:65], v[144:145], 1.0
	v_add_f64 v[26:27], v[26:27], -v[160:161]
	v_div_scale_f64 v[160:161], vcc, v[34:35], v[50:51], v[34:35]
	v_fma_f64 v[140:141], v[140:141], v[158:159], v[140:141]
	v_fma_f64 v[158:159], v[122:123], v[54:55], 0
	;; [unrolled: 1-line block ×5, first 2 shown]
	v_fma_f64 v[177:178], -v[52:53], v[140:141], 1.0
	v_fma_f64 v[158:159], v[94:95], v[56:57], v[158:159]
	v_fma_f64 v[185:186], -v[64:65], v[46:47], 1.0
	v_fma_f64 v[144:145], v[70:71], v[26:27], v[144:145]
	v_fma_f64 v[140:141], v[140:141], v[177:178], v[140:141]
	;; [unrolled: 1-line block ×4, first 2 shown]
	v_add_f64 v[28:29], v[28:29], -v[144:145]
	v_fma_f64 v[177:178], v[126:127], v[54:55], 0
	v_fma_f64 v[185:186], v[128:129], v[54:55], 0
	s_waitcnt vmcnt(1)
	v_fma_f64 v[22:23], v[154:155], v[38:39], v[22:23]
	v_fma_f64 v[24:25], v[154:155], v[40:41], v[24:25]
	v_mul_f64 v[144:145], v[160:161], v[140:141]
	v_mul_f64 v[38:39], v[181:182], v[46:47]
	v_fma_f64 v[158:159], v[58:59], v[28:29], v[158:159]
	v_fma_f64 v[177:178], v[102:103], v[56:57], v[177:178]
	;; [unrolled: 1-line block ×4, first 2 shown]
	v_fma_f64 v[52:53], -v[52:53], v[144:145], v[160:161]
	v_fma_f64 v[64:65], -v[64:65], v[38:39], v[181:182]
	v_add_f64 v[158:159], v[22:23], -v[158:159]
	v_fma_f64 v[160:161], v[78:79], v[26:27], v[177:178]
	v_fma_f64 v[177:178], v[80:81], v[26:27], v[185:186]
	v_div_fmas_f64 v[22:23], v[52:53], v[140:141], v[144:145]
	s_mov_b64 vcc, s[0:1]
	v_div_fmas_f64 v[38:39], v[64:65], v[46:47], v[38:39]
	v_fma_f64 v[48:49], v[62:63], v[158:159], v[48:49]
	v_fma_f64 v[40:41], v[72:73], v[28:29], v[160:161]
	;; [unrolled: 1-line block ×3, first 2 shown]
	s_waitcnt vmcnt(0)
	v_fma_f64 v[18:19], v[154:155], v[30:31], v[18:19]
	v_fma_f64 v[20:21], v[154:155], v[32:33], v[20:21]
	v_add_f64 v[48:49], v[24:25], -v[48:49]
	v_fma_f64 v[40:41], v[66:67], v[158:159], v[40:41]
	v_fma_f64 v[46:47], v[138:139], v[158:159], v[46:47]
	v_div_fixup_f64 v[34:35], v[22:23], v[50:51], v[34:35]
	v_div_fixup_f64 v[36:37], v[38:39], v[50:51], v[36:37]
	v_fma_f64 v[22:23], v[34:35], v[48:49], v[40:41]
	v_fma_f64 v[24:25], v[36:37], v[48:49], v[46:47]
	v_add_f64 v[38:39], v[18:19], -v[22:23]
	v_add_f64 v[40:41], v[20:21], -v[24:25]
	v_div_scale_f64 v[20:21], s[0:1], v[142:143], v[142:143], v[110:111]
	v_div_scale_f64 v[18:19], s[0:1], v[38:39], v[38:39], v[40:41]
	;; [unrolled: 1-line block ×3, first 2 shown]
	v_rcp_f64_e32 v[24:25], v[20:21]
	v_rcp_f64_e32 v[22:23], v[18:19]
	v_fma_f64 v[32:33], -v[20:21], v[24:25], 1.0
	v_fma_f64 v[30:31], -v[18:19], v[22:23], 1.0
	v_fma_f64 v[24:25], v[24:25], v[32:33], v[24:25]
	v_fma_f64 v[22:23], v[22:23], v[30:31], v[22:23]
	v_div_scale_f64 v[30:31], vcc, v[40:41], v[38:39], v[40:41]
	v_fma_f64 v[52:53], -v[20:21], v[24:25], 1.0
	v_fma_f64 v[32:33], -v[18:19], v[22:23], 1.0
	v_fma_f64 v[24:25], v[24:25], v[52:53], v[24:25]
	v_fma_f64 v[22:23], v[22:23], v[32:33], v[22:23]
	v_mul_f64 v[52:53], v[46:47], v[24:25]
	v_mul_f64 v[32:33], v[30:31], v[22:23]
	v_fma_f64 v[20:21], -v[20:21], v[52:53], v[46:47]
	v_fma_f64 v[18:19], -v[18:19], v[32:33], v[30:31]
	v_div_fmas_f64 v[46:47], v[18:19], v[22:23], v[32:33]
	s_mov_b64 vcc, s[0:1]
	v_div_fmas_f64 v[18:19], v[20:21], v[24:25], v[52:53]
	v_div_fixup_f64 v[52:53], v[18:19], v[142:143], v[110:111]
	v_fma_f64 v[18:19], v[52:53], v[130:131], 0
	v_fma_f64 v[32:33], v[52:53], v[167:168], 0
	;; [unrolled: 1-line block ×3, first 2 shown]
	v_add_f64 v[18:19], v[112:113], -v[18:19]
	v_div_scale_f64 v[20:21], s[0:1], v[116:117], v[116:117], v[18:19]
	v_rcp_f64_e32 v[22:23], v[20:21]
	v_fma_f64 v[24:25], -v[20:21], v[22:23], 1.0
	v_fma_f64 v[22:23], v[22:23], v[24:25], v[22:23]
	v_div_scale_f64 v[24:25], vcc, v[18:19], v[116:117], v[18:19]
	v_fma_f64 v[30:31], -v[20:21], v[22:23], 1.0
	v_fma_f64 v[22:23], v[22:23], v[30:31], v[22:23]
	v_mul_f64 v[30:31], v[24:25], v[22:23]
	v_fma_f64 v[20:21], -v[20:21], v[30:31], v[24:25]
	v_div_fmas_f64 v[20:21], v[20:21], v[22:23], v[30:31]
	v_fma_f64 v[22:23], v[52:53], v[132:133], 0
	v_div_fixup_f64 v[64:65], v[20:21], v[116:117], v[18:19]
	v_fma_f64 v[18:19], v[64:65], v[134:135], v[22:23]
	v_fma_f64 v[54:55], v[64:65], v[56:57], v[54:55]
	v_add_f64 v[18:19], v[106:107], -v[18:19]
	v_div_scale_f64 v[20:21], s[0:1], v[86:87], v[86:87], v[18:19]
	v_rcp_f64_e32 v[22:23], v[20:21]
	v_fma_f64 v[24:25], -v[20:21], v[22:23], 1.0
	v_fma_f64 v[22:23], v[22:23], v[24:25], v[22:23]
	v_div_scale_f64 v[24:25], vcc, v[18:19], v[86:87], v[18:19]
	v_fma_f64 v[30:31], -v[20:21], v[22:23], 1.0
	v_fma_f64 v[22:23], v[22:23], v[30:31], v[22:23]
	v_mul_f64 v[30:31], v[24:25], v[22:23]
	v_fma_f64 v[20:21], -v[20:21], v[30:31], v[24:25]
	v_div_fmas_f64 v[20:21], v[20:21], v[22:23], v[30:31]
	v_fma_f64 v[22:23], v[52:53], v[88:89], 0
	v_fma_f64 v[22:23], v[64:65], v[136:137], v[22:23]
	v_div_fixup_f64 v[86:87], v[20:21], v[86:87], v[18:19]
	v_fma_f64 v[18:19], v[86:87], v[197:198], v[22:23]
	v_fma_f64 v[26:27], v[86:87], v[26:27], v[54:55]
	v_add_f64 v[18:19], v[108:109], -v[18:19]
	v_div_scale_f64 v[20:21], s[0:1], v[162:163], v[162:163], v[18:19]
	v_rcp_f64_e32 v[22:23], v[20:21]
	v_fma_f64 v[24:25], -v[20:21], v[22:23], 1.0
	v_fma_f64 v[22:23], v[22:23], v[24:25], v[22:23]
	v_div_scale_f64 v[24:25], vcc, v[18:19], v[162:163], v[18:19]
	v_fma_f64 v[30:31], -v[20:21], v[22:23], 1.0
	v_fma_f64 v[22:23], v[22:23], v[30:31], v[22:23]
	v_mul_f64 v[30:31], v[24:25], v[22:23]
	v_fma_f64 v[20:21], -v[20:21], v[30:31], v[24:25]
	v_fma_f64 v[24:25], v[52:53], v[179:180], 0
	v_div_fmas_f64 v[20:21], v[20:21], v[22:23], v[30:31]
	v_fma_f64 v[22:23], v[64:65], v[171:172], v[24:25]
	v_fma_f64 v[22:23], v[86:87], v[173:174], v[22:23]
	v_div_fixup_f64 v[88:89], v[20:21], v[162:163], v[18:19]
	v_fma_f64 v[18:19], v[88:89], v[199:200], v[22:23]
	v_add_f64 v[18:19], v[98:99], -v[18:19]
	v_div_scale_f64 v[20:21], s[0:1], v[68:69], v[68:69], v[18:19]
	v_rcp_f64_e32 v[22:23], v[20:21]
	v_fma_f64 v[24:25], -v[20:21], v[22:23], 1.0
	v_fma_f64 v[22:23], v[22:23], v[24:25], v[22:23]
	v_div_scale_f64 v[24:25], vcc, v[18:19], v[68:69], v[18:19]
	v_fma_f64 v[30:31], -v[20:21], v[22:23], 1.0
	v_fma_f64 v[22:23], v[22:23], v[30:31], v[22:23]
	v_mul_f64 v[30:31], v[24:25], v[22:23]
	v_fma_f64 v[20:21], -v[20:21], v[30:31], v[24:25]
	v_fma_f64 v[24:25], v[64:65], v[169:170], v[32:33]
	v_div_fmas_f64 v[20:21], v[20:21], v[22:23], v[30:31]
	v_fma_f64 v[22:23], v[86:87], v[42:43], v[24:25]
	v_fma_f64 v[22:23], v[88:89], v[44:45], v[22:23]
	v_div_fixup_f64 v[42:43], v[20:21], v[68:69], v[18:19]
	v_fma_f64 v[18:19], v[42:43], v[183:184], v[22:23]
	v_add_f64 v[30:31], v[100:101], -v[18:19]
	global_load_dwordx4 v[18:21], v[156:157], off offset:448
	v_div_scale_f64 v[32:33], s[0:1], v[50:51], v[50:51], v[30:31]
	v_div_scale_f64 v[44:45], vcc, v[30:31], v[50:51], v[30:31]
	v_rcp_f64_e32 v[22:23], v[32:33]
	v_fma_f64 v[24:25], -v[32:33], v[22:23], 1.0
	v_fma_f64 v[22:23], v[22:23], v[24:25], v[22:23]
	v_fma_f64 v[24:25], -v[32:33], v[22:23], 1.0
	v_fma_f64 v[68:69], v[22:23], v[24:25], v[22:23]
	global_load_dwordx4 v[22:25], v[156:157], off offset:464
	v_mul_f64 v[98:99], v[44:45], v[68:69]
	v_fma_f64 v[32:33], -v[32:33], v[98:99], v[44:45]
	v_fma_f64 v[44:45], v[88:89], v[28:29], v[26:27]
	global_load_dwordx4 v[26:29], v[156:157], off offset:480
	s_waitcnt vmcnt(2)
	v_fma_f64 v[14:15], v[154:155], v[18:19], v[14:15]
	v_fma_f64 v[16:17], v[154:155], v[20:21], v[16:17]
	v_div_fmas_f64 v[32:33], v[32:33], v[68:69], v[98:99]
	v_fma_f64 v[44:45], v[42:43], v[158:159], v[44:45]
	v_fma_f64 v[20:21], v[118:119], v[14:15], 0
	;; [unrolled: 1-line block ×3, first 2 shown]
	v_add_f64 v[16:17], v[16:17], -v[20:21]
	v_div_fixup_f64 v[50:51], v[32:33], v[50:51], v[30:31]
	v_fma_f64 v[54:55], v[94:95], v[16:17], v[54:55]
	v_fma_f64 v[30:31], v[50:51], v[48:49], v[44:45]
	;; [unrolled: 1-line block ×3, first 2 shown]
	v_add_f64 v[44:45], v[82:83], -v[30:31]
	global_load_dwordx4 v[30:33], v[156:157], off offset:496
	v_fma_f64 v[48:49], v[90:91], v[16:17], v[48:49]
	v_div_scale_f64 v[18:19], s[0:1], v[38:39], v[38:39], v[44:45]
	v_rcp_f64_e32 v[20:21], v[18:19]
	s_waitcnt vmcnt(2)
	v_fma_f64 v[10:11], v[154:155], v[22:23], v[10:11]
	v_fma_f64 v[22:23], v[114:115], v[14:15], 0
	;; [unrolled: 1-line block ×4, first 2 shown]
	v_add_f64 v[10:11], v[10:11], -v[48:49]
	v_fma_f64 v[22:23], v[92:93], v[16:17], v[22:23]
	v_fma_f64 v[24:25], v[96:97], v[16:17], v[24:25]
	v_fma_f64 v[48:49], -v[18:19], v[20:21], 1.0
	v_fma_f64 v[54:55], v[74:75], v[10:11], v[54:55]
	v_fma_f64 v[22:23], v[70:71], v[10:11], v[22:23]
	s_waitcnt vmcnt(1)
	v_fma_f64 v[6:7], v[154:155], v[26:27], v[6:7]
	v_fma_f64 v[26:27], v[128:129], v[14:15], 0
	;; [unrolled: 1-line block ×6, first 2 shown]
	v_add_f64 v[12:13], v[12:13], -v[22:23]
	v_div_scale_f64 v[22:23], vcc, v[44:45], v[38:39], v[44:45]
	v_fma_f64 v[14:15], v[52:53], v[14:15], 0
	v_fma_f64 v[26:27], v[104:105], v[16:17], v[26:27]
	v_fma_f64 v[56:57], -v[18:19], v[20:21], 1.0
	v_fma_f64 v[48:49], v[102:103], v[16:17], v[48:49]
	v_fma_f64 v[54:55], v[58:59], v[12:13], v[54:55]
	;; [unrolled: 1-line block ×7, first 2 shown]
	v_add_f64 v[6:7], v[6:7], -v[54:55]
	v_fma_f64 v[10:11], v[86:87], v[10:11], v[14:15]
	v_mul_f64 v[16:17], v[22:23], v[20:21]
	v_fma_f64 v[28:29], v[72:73], v[12:13], v[48:49]
	v_fma_f64 v[24:25], v[62:63], v[6:7], v[24:25]
	;; [unrolled: 1-line block ×3, first 2 shown]
	v_fma_f64 v[14:15], -v[18:19], v[16:17], v[22:23]
	v_fma_f64 v[18:19], v[175:176], v[12:13], v[26:27]
	v_fma_f64 v[22:23], v[66:67], v[6:7], v[28:29]
	v_add_f64 v[8:9], v[8:9], -v[24:25]
	s_waitcnt vmcnt(0)
	v_fma_f64 v[2:3], v[154:155], v[30:31], v[2:3]
	v_fma_f64 v[4:5], v[154:155], v[32:33], v[4:5]
	v_div_fmas_f64 v[12:13], v[14:15], v[20:21], v[16:17]
	v_fma_f64 v[14:15], v[138:139], v[6:7], v[18:19]
	v_fma_f64 v[6:7], v[42:43], v[6:7], v[10:11]
	;; [unrolled: 1-line block ×3, first 2 shown]
	v_mov_b32_e32 v19, s54
	v_fma_f64 v[10:11], v[36:37], v[8:9], v[14:15]
	v_div_fixup_f64 v[14:15], v[46:47], v[38:39], v[40:41]
	v_add_f64 v[2:3], v[2:3], -v[16:17]
	v_fma_f64 v[6:7], v[50:51], v[8:9], v[6:7]
	v_div_fixup_f64 v[8:9], v[12:13], v[38:39], v[44:45]
	v_fma_f64 v[10:11], v[14:15], v[2:3], v[10:11]
	v_fma_f64 v[2:3], v[8:9], v[2:3], v[6:7]
	v_add_f64 v[4:5], v[4:5], -v[10:11]
	v_add_f64 v[2:3], v[84:85], -v[2:3]
	v_div_scale_f64 v[6:7], s[0:1], v[4:5], v[4:5], v[2:3]
	v_add_co_u32_e64 v18, s[0:1], s53, v152
	v_addc_co_u32_e64 v19, s[0:1], v19, v153, s[0:1]
	v_rcp_f64_e32 v[10:11], v[6:7]
	v_fma_f64 v[12:13], -v[6:7], v[10:11], 1.0
	v_fma_f64 v[10:11], v[10:11], v[12:13], v[10:11]
	v_div_scale_f64 v[12:13], vcc, v[2:3], v[4:5], v[2:3]
	v_fma_f64 v[16:17], -v[6:7], v[10:11], 1.0
	v_fma_f64 v[10:11], v[10:11], v[16:17], v[10:11]
	v_mul_f64 v[16:17], v[12:13], v[10:11]
	v_fma_f64 v[6:7], -v[6:7], v[16:17], v[12:13]
	v_div_fmas_f64 v[6:7], v[6:7], v[10:11], v[16:17]
	v_add_co_u32_e32 v150, vcc, 64, v150
	v_addc_co_u32_e32 v151, vcc, 0, v151, vcc
	v_cmp_le_i64_e32 vcc, s[36:37], v[150:151]
	s_or_b64 s[42:43], vcc, s[42:43]
	v_add_co_u32_e32 v148, vcc, 0x200, v148
	v_addc_co_u32_e32 v149, vcc, 0, v149, vcc
	v_div_fixup_f64 v[4:5], v[6:7], v[4:5], v[2:3]
	v_fma_f64 v[2:3], v[14:15], v[4:5], 0
	v_add_f64 v[2:3], v[8:9], -v[2:3]
	v_fma_f64 v[6:7], v[34:35], v[2:3], 0
	v_fma_f64 v[6:7], v[36:37], v[4:5], v[6:7]
	v_add_f64 v[8:9], v[50:51], -v[6:7]
	v_fma_f64 v[6:7], v[62:63], v[8:9], 0
	v_fma_f64 v[6:7], v[66:67], v[2:3], v[6:7]
	;; [unrolled: 1-line block ×3, first 2 shown]
	v_add_f64 v[6:7], v[42:43], -v[6:7]
	v_fma_f64 v[10:11], v[58:59], v[6:7], 0
	v_fma_f64 v[10:11], v[60:61], v[8:9], v[10:11]
	;; [unrolled: 1-line block ×4, first 2 shown]
	v_add_f64 v[12:13], v[88:89], -v[10:11]
	v_fma_f64 v[10:11], v[70:71], v[12:13], 0
	v_fma_f64 v[10:11], v[74:75], v[6:7], v[10:11]
	;; [unrolled: 1-line block ×5, first 2 shown]
	v_add_f64 v[10:11], v[86:87], -v[10:11]
	v_fma_f64 v[14:15], v[90:91], v[10:11], 0
	v_fma_f64 v[14:15], v[92:93], v[12:13], v[14:15]
	;; [unrolled: 1-line block ×6, first 2 shown]
	v_add_f64 v[16:17], v[64:65], -v[14:15]
	v_fma_f64 v[14:15], v[118:119], v[16:17], 0
	v_fma_f64 v[14:15], v[120:121], v[10:11], v[14:15]
	v_fma_f64 v[14:15], v[114:115], v[12:13], v[14:15]
	v_fma_f64 v[14:15], v[122:123], v[6:7], v[14:15]
	v_fma_f64 v[14:15], v[124:125], v[8:9], v[14:15]
	v_fma_f64 v[14:15], v[126:127], v[2:3], v[14:15]
	v_fma_f64 v[14:15], v[128:129], v[4:5], v[14:15]
	v_add_f64 v[14:15], v[52:53], -v[14:15]
	global_store_dwordx4 v[18:19], v[2:5], off offset:48
	global_store_dwordx4 v[18:19], v[6:9], off offset:32
	;; [unrolled: 1-line block ×3, first 2 shown]
	global_store_dwordx4 v[18:19], v[14:17], off
	s_andn2_b64 exec, exec, s[42:43]
	s_cbranch_execz .LBB1_6
.LBB1_10:                               ;   Parent Loop BB1_7 Depth=1
                                        ; =>  This Inner Loop Header: Depth=2
	global_load_dwordx2 v[154:155], v[148:149], off
	v_mov_b32_e32 v5, s50
	v_mov_b32_e32 v8, s52
	;; [unrolled: 1-line block ×3, first 2 shown]
	s_waitcnt vmcnt(0)
	v_mad_u64_u32 v[158:159], s[0:1], v154, 48, s[18:19]
	v_mul_lo_u32 v6, v155, 48
	v_lshlrev_b64 v[152:153], 6, v[154:155]
	v_lshlrev_b64 v[156:157], 9, v[154:155]
	v_add_co_u32_e32 v4, vcc, s49, v152
	v_add_u32_e32 v159, v6, v159
	global_load_dwordx2 v[2:3], v[158:159], off
	v_addc_co_u32_e32 v5, vcc, v5, v153, vcc
	v_add_co_u32_e32 v14, vcc, s51, v156
	v_addc_co_u32_e32 v15, vcc, v8, v157, vcc
	global_load_dwordx4 v[82:85], v[4:5], off offset:48
	global_load_dwordx4 v[98:101], v[4:5], off offset:32
	global_load_dwordx4 v[106:109], v[4:5], off offset:16
	global_load_dwordx4 v[110:113], v[4:5], off
	global_load_dwordx4 v[130:133], v[14:15], off offset:48
	global_load_dwordx4 v[134:137], v[14:15], off offset:32
	;; [unrolled: 1-line block ×3, first 2 shown]
	global_load_dwordx4 v[142:145], v[14:15], off
	global_load_dwordx4 v[114:117], v[14:15], off offset:112
	global_load_dwordx4 v[118:121], v[14:15], off offset:96
	;; [unrolled: 1-line block ×7, first 2 shown]
                                        ; kill: killed $vgpr4 killed $vgpr5
	global_load_dwordx4 v[102:105], v[14:15], off offset:128
	global_load_dwordx4 v[66:69], v[14:15], off offset:240
	;; [unrolled: 1-line block ×17, first 2 shown]
	v_mad_u64_u32 v[160:161], s[0:1], v154, 48, s[22:23]
	v_add_u32_e32 v161, v6, v161
	global_load_dwordx2 v[167:168], v[160:161], off
	s_waitcnt vmcnt(33)
	v_lshlrev_b64 v[2:3], 3, v[2:3]
	v_add_co_u32_e32 v2, vcc, s16, v2
	v_addc_co_u32_e32 v3, vcc, v7, v3, vcc
	global_load_dwordx2 v[162:163], v[2:3], off
	s_nop 0
	global_load_dwordx4 v[2:5], v[14:15], off offset:496
	global_load_dwordx4 v[6:9], v[14:15], off offset:480
	global_load_dwordx4 v[10:13], v[14:15], off offset:464
	s_nop 0
	global_load_dwordx4 v[14:17], v[14:15], off offset:448
	s_waitcnt vmcnt(5)
	v_cmp_ne_u64_e32 vcc, 0, v[167:168]
	s_waitcnt vmcnt(4)
	v_cmp_lt_i64_e64 s[0:1], -1, v[162:163]
	s_and_b64 s[0:1], s[0:1], vcc
	s_and_saveexec_b64 s[44:45], s[0:1]
	s_cbranch_execz .LBB1_12
; %bb.11:                               ;   in Loop: Header=BB1_10 Depth=2
	v_lshlrev_b64 v[175:176], 5, v[162:163]
	v_mov_b32_e32 v168, s21
	v_add_co_u32_e32 v167, vcc, s20, v175
	v_addc_co_u32_e32 v168, vcc, v168, v176, vcc
	global_load_dwordx2 v[167:168], v[167:168], off
	v_mov_b32_e32 v177, s24
	v_mov_b32_e32 v178, s20
	;; [unrolled: 1-line block ×5, first 2 shown]
	v_lshlrev_b64 v[162:163], 8, v[162:163]
	v_mov_b32_e32 v183, s29
	v_mov_b32_e32 v215, s56
	s_waitcnt vmcnt(0)
	v_ashrrev_i32_e32 v171, 31, v168
	v_lshrrev_b32_e32 v171, 29, v171
	v_add_co_u32_e32 v167, vcc, v167, v171
	v_addc_co_u32_e32 v168, vcc, 0, v168, vcc
	v_ashrrev_i64 v[167:168], 3, v[167:168]
	v_cmp_eq_u64_e32 vcc, v[154:155], v[167:168]
	v_cndmask_b32_e32 v168, v178, v177, vcc
	v_cndmask_b32_e32 v167, v170, v169, vcc
	v_add_co_u32_e64 v171, s[0:1], v168, v175
	v_addc_co_u32_e64 v172, s[0:1], v167, v176, s[0:1]
	v_cndmask_b32_e32 v180, v169, v170, vcc
	global_load_dwordx4 v[167:170], v[171:172], off
	s_nop 0
	global_load_dwordx4 v[171:174], v[171:172], off offset:16
	v_cndmask_b32_e32 v177, v177, v178, vcc
	v_cndmask_b32_e32 v178, 0, v166, vcc
	v_add_co_u32_e32 v179, vcc, v177, v175
	v_addc_co_u32_e32 v180, vcc, v180, v176, vcc
	v_add_co_u32_e32 v184, vcc, s26, v178
	v_addc_co_u32_e32 v185, vcc, 0, v181, vcc
	global_load_dwordx4 v[175:178], v[179:180], off offset:16
	s_nop 0
	global_load_dwordx4 v[179:182], v[179:180], off
	v_add_co_u32_e32 v162, vcc, v184, v162
	v_addc_co_u32_e32 v163, vcc, v185, v163, vcc
	v_add_co_u32_e32 v162, vcc, s28, v162
	v_addc_co_u32_e32 v163, vcc, v163, v183, vcc
	global_load_dwordx4 v[183:186], v[162:163], off
	global_load_dwordx4 v[187:190], v[162:163], off offset:16
	global_load_dwordx4 v[191:194], v[162:163], off offset:32
	;; [unrolled: 1-line block ×7, first 2 shown]
	s_waitcnt vmcnt(11)
	v_lshlrev_b64 v[162:163], 3, v[167:168]
	v_lshlrev_b64 v[167:168], 3, v[169:170]
	v_add_co_u32_e32 v162, vcc, s55, v162
	v_addc_co_u32_e32 v163, vcc, v215, v163, vcc
	global_load_dwordx2 v[162:163], v[162:163], off
	v_add_co_u32_e32 v167, vcc, s55, v167
	v_addc_co_u32_e32 v168, vcc, v215, v168, vcc
	global_load_dwordx2 v[167:168], v[167:168], off
	s_waitcnt vmcnt(12)
	v_lshlrev_b64 v[169:170], 3, v[171:172]
	v_lshlrev_b64 v[171:172], 3, v[173:174]
	v_add_co_u32_e32 v169, vcc, s55, v169
	v_addc_co_u32_e32 v170, vcc, v215, v170, vcc
	global_load_dwordx2 v[169:170], v[169:170], off
	v_add_co_u32_e32 v171, vcc, s55, v171
	v_addc_co_u32_e32 v172, vcc, v215, v172, vcc
	global_load_dwordx2 v[171:172], v[171:172], off
	s_waitcnt vmcnt(12)
	v_ashrrev_i32_e32 v173, 31, v180
	v_ashrrev_i32_e32 v174, 31, v182
	v_lshrrev_b32_e32 v217, 29, v173
	v_lshrrev_b32_e32 v218, 29, v174
	s_waitcnt vmcnt(11)
	v_mul_f64 v[173:174], v[146:147], v[183:184]
	v_mul_f64 v[183:184], v[146:147], v[185:186]
	v_add_co_u32_e32 v217, vcc, v179, v217
	v_addc_co_u32_e32 v219, vcc, 0, v180, vcc
	v_ashrrev_i32_e32 v215, 31, v176
	v_add_co_u32_e32 v218, vcc, v181, v218
	v_lshrrev_b32_e32 v215, 29, v215
	s_waitcnt vmcnt(10)
	v_mul_f64 v[185:186], v[146:147], v[187:188]
	v_addc_co_u32_e32 v220, vcc, 0, v182, vcc
	v_add_co_u32_e32 v215, vcc, v175, v215
	v_mul_f64 v[187:188], v[146:147], v[189:190]
	s_waitcnt vmcnt(9)
	v_mul_f64 v[189:190], v[146:147], v[191:192]
	v_mul_f64 v[191:192], v[146:147], v[193:194]
	s_waitcnt vmcnt(8)
	v_mul_f64 v[193:194], v[146:147], v[195:196]
	;; [unrolled: 3-line block ×4, first 2 shown]
	v_mul_f64 v[203:204], v[146:147], v[205:206]
	v_addc_co_u32_e32 v221, vcc, 0, v176, vcc
	s_waitcnt vmcnt(4)
	v_mul_f64 v[205:206], v[146:147], v[211:212]
	v_mul_f64 v[211:212], v[146:147], v[213:214]
	v_and_b32_e32 v213, -8, v217
	v_sub_co_u32_e32 v179, vcc, v179, v213
	v_subb_co_u32_e32 v180, vcc, v180, v219, vcc
	v_cmp_eq_u64_e32 vcc, 1, v[179:180]
	v_cmp_eq_u64_e64 s[0:1], 2, v[179:180]
	v_cndmask_b32_e32 v213, v111, v113, vcc
	v_cmp_eq_u64_e64 s[2:3], 3, v[179:180]
	v_cndmask_b32_e64 v213, v213, v107, s[0:1]
	v_cmp_eq_u64_e64 s[4:5], 4, v[179:180]
	v_cmp_eq_u64_e64 s[6:7], 5, v[179:180]
	;; [unrolled: 1-line block ×4, first 2 shown]
	v_and_b32_e32 v214, -8, v218
	v_sub_co_u32_e64 v181, s[12:13], v181, v214
	v_subb_co_u32_e64 v182, s[12:13], v182, v220, s[12:13]
	v_cmp_eq_u64_e64 s[12:13], 0, v[179:180]
	v_mul_f64 v[207:208], v[146:147], v[207:208]
	v_ashrrev_i32_e32 v216, 31, v178
	v_lshrrev_b32_e32 v216, 29, v216
	v_mul_f64 v[209:210], v[146:147], v[209:210]
	s_waitcnt vmcnt(3)
	v_fma_f64 v[173:174], v[173:174], v[162:163], 0
	s_waitcnt vmcnt(2)
	v_fma_f64 v[173:174], v[183:184], v[167:168], v[173:174]
	v_cndmask_b32_e64 v183, v213, v109, s[2:3]
	v_cndmask_b32_e32 v184, v110, v112, vcc
	v_cndmask_b32_e64 v213, v183, v99, s[4:5]
	v_cndmask_b32_e64 v217, v184, v106, s[0:1]
	v_fma_f64 v[183:184], v[162:163], v[189:190], 0
	s_waitcnt vmcnt(1)
	v_fma_f64 v[173:174], v[185:186], v[169:170], v[173:174]
	v_cndmask_b32_e64 v185, v213, v101, s[6:7]
	v_cndmask_b32_e64 v186, v217, v108, s[2:3]
	;; [unrolled: 1-line block ×4, first 2 shown]
	v_fma_f64 v[185:186], v[162:163], v[197:198], 0
	v_fma_f64 v[183:184], v[167:168], v[191:192], v[183:184]
	;; [unrolled: 1-line block ×3, first 2 shown]
	s_waitcnt vmcnt(0)
	v_fma_f64 v[173:174], v[187:188], v[171:172], v[173:174]
	v_cndmask_b32_e64 v187, v190, v100, s[6:7]
	v_cndmask_b32_e64 v187, v187, v82, s[8:9]
	;; [unrolled: 1-line block ×4, first 2 shown]
	v_fma_f64 v[185:186], v[167:168], v[199:200], v[185:186]
	v_fma_f64 v[183:184], v[169:170], v[193:194], v[183:184]
	;; [unrolled: 1-line block ×3, first 2 shown]
	v_add_f64 v[173:174], v[187:188], -v[173:174]
	v_fma_f64 v[167:168], v[169:170], v[201:202], v[185:186]
	v_fma_f64 v[183:184], v[171:172], v[195:196], v[183:184]
	v_cndmask_b32_e32 v112, v112, v173, vcc
	v_cndmask_b32_e32 v113, v113, v174, vcc
	v_cmp_eq_u64_e32 vcc, 1, v[181:182]
	v_cndmask_b32_e64 v106, v106, v173, s[0:1]
	v_cndmask_b32_e64 v107, v107, v174, s[0:1]
	;; [unrolled: 1-line block ×3, first 2 shown]
	v_cmp_eq_u64_e64 s[0:1], 2, v[181:182]
	v_cndmask_b32_e64 v186, v82, v173, s[8:9]
	v_cndmask_b32_e64 v108, v108, v173, s[2:3]
	;; [unrolled: 1-line block ×4, first 2 shown]
	v_cndmask_b32_e32 v82, v111, v113, vcc
	v_cmp_eq_u64_e64 s[2:3], 3, v[181:182]
	v_cndmask_b32_e64 v188, v98, v173, s[4:5]
	v_cndmask_b32_e64 v179, v83, v174, s[8:9]
	;; [unrolled: 1-line block ×4, first 2 shown]
	v_cndmask_b32_e32 v83, v110, v112, vcc
	v_cmp_eq_u64_e64 s[4:5], 4, v[181:182]
	v_cndmask_b32_e64 v187, v100, v173, s[6:7]
	v_cndmask_b32_e64 v180, v101, v174, s[6:7]
	;; [unrolled: 1-line block ×4, first 2 shown]
	v_cmp_eq_u64_e64 s[6:7], 5, v[181:182]
	v_cndmask_b32_e64 v82, v82, v189, s[4:5]
	v_cndmask_b32_e64 v83, v83, v108, s[2:3]
	v_cmp_eq_u64_e64 s[8:9], 6, v[181:182]
	v_cndmask_b32_e64 v185, v84, v173, s[10:11]
	v_cndmask_b32_e64 v173, v85, v174, s[10:11]
	v_cndmask_b32_e64 v82, v82, v180, s[6:7]
	v_cndmask_b32_e64 v83, v83, v188, s[4:5]
	v_cmp_eq_u64_e64 s[10:11], 7, v[181:182]
	v_cndmask_b32_e64 v82, v82, v179, s[8:9]
	v_cndmask_b32_e64 v84, v83, v187, s[6:7]
	;; [unrolled: 1-line block ×5, first 2 shown]
	v_add_f64 v[82:83], v[82:83], -v[183:184]
	v_and_b32_e32 v84, -8, v215
	v_sub_co_u32_e64 v84, s[12:13], v175, v84
	v_subb_co_u32_e64 v85, s[12:13], v176, v221, s[12:13]
	v_cmp_eq_u64_e64 s[12:13], 0, v[181:182]
	v_fma_f64 v[98:99], v[169:170], v[207:208], v[162:163]
	v_cndmask_b32_e32 v112, v112, v82, vcc
	v_cndmask_b32_e32 v113, v113, v83, vcc
	v_cmp_eq_u64_e32 vcc, 1, v[84:85]
	v_cndmask_b32_e64 v106, v106, v82, s[0:1]
	v_cndmask_b32_e64 v107, v107, v83, s[0:1]
	;; [unrolled: 1-line block ×3, first 2 shown]
	v_cmp_eq_u64_e64 s[0:1], 2, v[84:85]
	v_fma_f64 v[100:101], v[171:172], v[203:204], v[167:168]
	v_cndmask_b32_e64 v162, v185, v82, s[10:11]
	v_cndmask_b32_e64 v163, v186, v82, s[8:9]
	;; [unrolled: 1-line block ×7, first 2 shown]
	v_cndmask_b32_e32 v82, v176, v113, vcc
	v_cmp_eq_u64_e64 s[2:3], 3, v[84:85]
	v_cndmask_b32_e64 v170, v173, v83, s[10:11]
	v_cndmask_b32_e64 v173, v179, v83, s[8:9]
	;; [unrolled: 1-line block ×5, first 2 shown]
	v_cndmask_b32_e32 v83, v169, v112, vcc
	v_cmp_eq_u64_e64 s[4:5], 4, v[84:85]
	v_cndmask_b32_e64 v82, v82, v109, s[2:3]
	v_cndmask_b32_e64 v83, v83, v106, s[0:1]
	v_cmp_eq_u64_e64 s[6:7], 5, v[84:85]
	v_cndmask_b32_e64 v82, v82, v175, s[4:5]
	v_cndmask_b32_e64 v83, v83, v108, s[2:3]
	v_cmp_eq_u64_e64 s[8:9], 6, v[84:85]
	v_cndmask_b32_e64 v82, v82, v174, s[6:7]
	v_cndmask_b32_e64 v83, v83, v168, s[4:5]
	v_cmp_eq_u64_e64 s[10:11], 7, v[84:85]
	v_cndmask_b32_e64 v82, v82, v173, s[8:9]
	v_cndmask_b32_e64 v110, v83, v167, s[6:7]
	v_cndmask_b32_e64 v83, v82, v170, s[10:11]
	v_cndmask_b32_e64 v82, v110, v163, s[8:9]
	;; [unrolled: 1-line block ×3, first 2 shown]
	v_add_f64 v[82:83], v[82:83], -v[100:101]
	v_add_co_u32_e64 v100, s[12:13], v177, v216
	v_addc_co_u32_e64 v101, s[12:13], 0, v178, s[12:13]
	v_and_b32_e32 v100, -8, v100
	v_sub_co_u32_e64 v110, s[12:13], v177, v100
	v_subb_co_u32_e64 v111, s[12:13], v178, v101, s[12:13]
	v_cmp_eq_u64_e64 s[12:13], 0, v[84:85]
	v_cndmask_b32_e32 v112, v112, v82, vcc
	v_cndmask_b32_e32 v113, v113, v83, vcc
	v_cmp_eq_u64_e32 vcc, 1, v[110:111]
	v_cndmask_b32_e64 v106, v106, v82, s[0:1]
	v_cndmask_b32_e64 v84, v170, v83, s[10:11]
	;; [unrolled: 1-line block ×5, first 2 shown]
	v_cmp_eq_u64_e64 s[0:1], 2, v[110:111]
	v_fma_f64 v[98:99], v[171:172], v[209:210], v[98:99]
	v_cndmask_b32_e64 v100, v162, v82, s[10:11]
	v_cndmask_b32_e64 v101, v163, v82, s[8:9]
	;; [unrolled: 1-line block ×7, first 2 shown]
	v_cndmask_b32_e32 v82, v173, v113, vcc
	v_cmp_eq_u64_e64 s[2:3], 3, v[110:111]
	v_cndmask_b32_e64 v171, v174, v83, s[6:7]
	v_cndmask_b32_e64 v172, v175, v83, s[4:5]
	;; [unrolled: 1-line block ×3, first 2 shown]
	v_cndmask_b32_e32 v83, v169, v112, vcc
	v_cmp_eq_u64_e64 s[4:5], 4, v[110:111]
	v_cndmask_b32_e64 v82, v82, v109, s[2:3]
	v_cndmask_b32_e64 v83, v83, v106, s[0:1]
	v_cmp_eq_u64_e64 s[6:7], 5, v[110:111]
	v_cndmask_b32_e64 v82, v82, v172, s[4:5]
	v_cndmask_b32_e64 v83, v83, v108, s[2:3]
	;; [unrolled: 3-line block ×4, first 2 shown]
	v_cndmask_b32_e64 v83, v82, v84, s[10:11]
	v_cndmask_b32_e64 v82, v85, v101, s[8:9]
	;; [unrolled: 1-line block ×3, first 2 shown]
	v_add_f64 v[162:163], v[82:83], -v[98:99]
	v_cndmask_b32_e32 v113, v113, v163, vcc
	v_cndmask_b32_e32 v112, v112, v162, vcc
	v_cmp_eq_u64_e32 vcc, 0, v[110:111]
	v_cndmask_b32_e64 v85, v84, v163, s[10:11]
	v_cndmask_b32_e64 v84, v100, v162, s[10:11]
	;; [unrolled: 1-line block ×12, first 2 shown]
	v_cndmask_b32_e32 v111, v173, v163, vcc
	v_cndmask_b32_e32 v110, v169, v162, vcc
.LBB1_12:                               ;   in Loop: Header=BB1_10 Depth=2
	s_or_b64 exec, exec, s[44:45]
	global_load_dwordx2 v[162:163], v[158:159], off offset:8
	v_mov_b32_e32 v167, s17
	s_waitcnt vmcnt(0)
	v_lshlrev_b64 v[162:163], 3, v[162:163]
	v_add_co_u32_e32 v162, vcc, s16, v162
	v_addc_co_u32_e32 v163, vcc, v167, v163, vcc
	global_load_dwordx2 v[167:168], v[160:161], off offset:8
	s_nop 0
	global_load_dwordx2 v[162:163], v[162:163], off
	s_waitcnt vmcnt(1)
	v_cmp_ne_u64_e32 vcc, 0, v[167:168]
	s_waitcnt vmcnt(0)
	v_cmp_lt_i64_e64 s[0:1], -1, v[162:163]
	s_and_b64 s[0:1], s[0:1], vcc
	s_and_saveexec_b64 s[44:45], s[0:1]
	s_cbranch_execz .LBB1_14
; %bb.13:                               ;   in Loop: Header=BB1_10 Depth=2
	v_lshlrev_b64 v[175:176], 5, v[162:163]
	v_mov_b32_e32 v168, s21
	v_add_co_u32_e32 v167, vcc, s20, v175
	v_addc_co_u32_e32 v168, vcc, v168, v176, vcc
	global_load_dwordx2 v[167:168], v[167:168], off
	v_mov_b32_e32 v177, s24
	v_mov_b32_e32 v178, s20
	;; [unrolled: 1-line block ×5, first 2 shown]
	v_lshlrev_b64 v[162:163], 8, v[162:163]
	v_mov_b32_e32 v183, s29
	v_mov_b32_e32 v215, s56
	s_waitcnt vmcnt(0)
	v_ashrrev_i32_e32 v171, 31, v168
	v_lshrrev_b32_e32 v171, 29, v171
	v_add_co_u32_e32 v167, vcc, v167, v171
	v_addc_co_u32_e32 v168, vcc, 0, v168, vcc
	v_ashrrev_i64 v[167:168], 3, v[167:168]
	v_cmp_eq_u64_e32 vcc, v[154:155], v[167:168]
	v_cndmask_b32_e32 v168, v178, v177, vcc
	v_cndmask_b32_e32 v167, v170, v169, vcc
	v_add_co_u32_e64 v171, s[0:1], v168, v175
	v_addc_co_u32_e64 v172, s[0:1], v167, v176, s[0:1]
	v_cndmask_b32_e32 v180, v169, v170, vcc
	global_load_dwordx4 v[167:170], v[171:172], off
	s_nop 0
	global_load_dwordx4 v[171:174], v[171:172], off offset:16
	v_cndmask_b32_e32 v177, v177, v178, vcc
	v_cndmask_b32_e32 v178, 0, v166, vcc
	v_add_co_u32_e32 v179, vcc, v177, v175
	v_addc_co_u32_e32 v180, vcc, v180, v176, vcc
	v_add_co_u32_e32 v184, vcc, s26, v178
	v_addc_co_u32_e32 v185, vcc, 0, v181, vcc
	global_load_dwordx4 v[175:178], v[179:180], off offset:16
	s_nop 0
	global_load_dwordx4 v[179:182], v[179:180], off
	v_add_co_u32_e32 v162, vcc, v184, v162
	v_addc_co_u32_e32 v163, vcc, v185, v163, vcc
	v_add_co_u32_e32 v162, vcc, s28, v162
	v_addc_co_u32_e32 v163, vcc, v163, v183, vcc
	global_load_dwordx4 v[183:186], v[162:163], off
	global_load_dwordx4 v[187:190], v[162:163], off offset:16
	global_load_dwordx4 v[191:194], v[162:163], off offset:32
	;; [unrolled: 1-line block ×7, first 2 shown]
	s_waitcnt vmcnt(11)
	v_lshlrev_b64 v[162:163], 3, v[167:168]
	v_lshlrev_b64 v[167:168], 3, v[169:170]
	v_add_co_u32_e32 v162, vcc, s55, v162
	v_addc_co_u32_e32 v163, vcc, v215, v163, vcc
	global_load_dwordx2 v[162:163], v[162:163], off
	v_add_co_u32_e32 v167, vcc, s55, v167
	v_addc_co_u32_e32 v168, vcc, v215, v168, vcc
	global_load_dwordx2 v[167:168], v[167:168], off
	s_waitcnt vmcnt(12)
	v_lshlrev_b64 v[169:170], 3, v[171:172]
	v_lshlrev_b64 v[171:172], 3, v[173:174]
	v_add_co_u32_e32 v169, vcc, s55, v169
	v_addc_co_u32_e32 v170, vcc, v215, v170, vcc
	global_load_dwordx2 v[169:170], v[169:170], off
	v_add_co_u32_e32 v171, vcc, s55, v171
	v_addc_co_u32_e32 v172, vcc, v215, v172, vcc
	global_load_dwordx2 v[171:172], v[171:172], off
	s_waitcnt vmcnt(12)
	v_ashrrev_i32_e32 v173, 31, v180
	v_ashrrev_i32_e32 v174, 31, v182
	v_lshrrev_b32_e32 v217, 29, v173
	v_lshrrev_b32_e32 v218, 29, v174
	s_waitcnt vmcnt(11)
	v_mul_f64 v[173:174], v[146:147], v[183:184]
	v_mul_f64 v[183:184], v[146:147], v[185:186]
	v_add_co_u32_e32 v217, vcc, v179, v217
	v_addc_co_u32_e32 v219, vcc, 0, v180, vcc
	v_ashrrev_i32_e32 v215, 31, v176
	v_add_co_u32_e32 v218, vcc, v181, v218
	v_lshrrev_b32_e32 v215, 29, v215
	s_waitcnt vmcnt(10)
	v_mul_f64 v[185:186], v[146:147], v[187:188]
	v_addc_co_u32_e32 v220, vcc, 0, v182, vcc
	v_add_co_u32_e32 v215, vcc, v175, v215
	v_mul_f64 v[187:188], v[146:147], v[189:190]
	s_waitcnt vmcnt(9)
	v_mul_f64 v[189:190], v[146:147], v[191:192]
	v_mul_f64 v[191:192], v[146:147], v[193:194]
	s_waitcnt vmcnt(8)
	v_mul_f64 v[193:194], v[146:147], v[195:196]
	;; [unrolled: 3-line block ×4, first 2 shown]
	v_mul_f64 v[203:204], v[146:147], v[205:206]
	v_addc_co_u32_e32 v221, vcc, 0, v176, vcc
	s_waitcnt vmcnt(4)
	v_mul_f64 v[205:206], v[146:147], v[211:212]
	v_mul_f64 v[211:212], v[146:147], v[213:214]
	v_and_b32_e32 v213, -8, v217
	v_sub_co_u32_e32 v179, vcc, v179, v213
	v_subb_co_u32_e32 v180, vcc, v180, v219, vcc
	v_cmp_eq_u64_e32 vcc, 1, v[179:180]
	v_cmp_eq_u64_e64 s[0:1], 2, v[179:180]
	v_cndmask_b32_e32 v213, v111, v113, vcc
	v_cmp_eq_u64_e64 s[2:3], 3, v[179:180]
	v_cndmask_b32_e64 v213, v213, v107, s[0:1]
	v_cmp_eq_u64_e64 s[4:5], 4, v[179:180]
	v_cmp_eq_u64_e64 s[6:7], 5, v[179:180]
	;; [unrolled: 1-line block ×4, first 2 shown]
	v_and_b32_e32 v214, -8, v218
	v_sub_co_u32_e64 v181, s[12:13], v181, v214
	v_subb_co_u32_e64 v182, s[12:13], v182, v220, s[12:13]
	v_cmp_eq_u64_e64 s[12:13], 0, v[179:180]
	v_mul_f64 v[207:208], v[146:147], v[207:208]
	v_ashrrev_i32_e32 v216, 31, v178
	v_lshrrev_b32_e32 v216, 29, v216
	v_mul_f64 v[209:210], v[146:147], v[209:210]
	s_waitcnt vmcnt(3)
	v_fma_f64 v[173:174], v[173:174], v[162:163], 0
	s_waitcnt vmcnt(2)
	v_fma_f64 v[173:174], v[183:184], v[167:168], v[173:174]
	v_cndmask_b32_e64 v183, v213, v109, s[2:3]
	v_cndmask_b32_e32 v184, v110, v112, vcc
	v_cndmask_b32_e64 v213, v183, v99, s[4:5]
	v_cndmask_b32_e64 v217, v184, v106, s[0:1]
	v_fma_f64 v[183:184], v[162:163], v[189:190], 0
	s_waitcnt vmcnt(1)
	v_fma_f64 v[173:174], v[185:186], v[169:170], v[173:174]
	v_cndmask_b32_e64 v185, v213, v101, s[6:7]
	v_cndmask_b32_e64 v186, v217, v108, s[2:3]
	;; [unrolled: 1-line block ×4, first 2 shown]
	v_fma_f64 v[185:186], v[162:163], v[197:198], 0
	v_fma_f64 v[183:184], v[167:168], v[191:192], v[183:184]
	;; [unrolled: 1-line block ×3, first 2 shown]
	s_waitcnt vmcnt(0)
	v_fma_f64 v[173:174], v[187:188], v[171:172], v[173:174]
	v_cndmask_b32_e64 v187, v190, v100, s[6:7]
	v_cndmask_b32_e64 v187, v187, v82, s[8:9]
	;; [unrolled: 1-line block ×4, first 2 shown]
	v_fma_f64 v[185:186], v[167:168], v[199:200], v[185:186]
	v_fma_f64 v[183:184], v[169:170], v[193:194], v[183:184]
	;; [unrolled: 1-line block ×3, first 2 shown]
	v_add_f64 v[173:174], v[187:188], -v[173:174]
	v_fma_f64 v[167:168], v[169:170], v[201:202], v[185:186]
	v_fma_f64 v[183:184], v[171:172], v[195:196], v[183:184]
	v_cndmask_b32_e32 v112, v112, v173, vcc
	v_cndmask_b32_e32 v113, v113, v174, vcc
	v_cmp_eq_u64_e32 vcc, 1, v[181:182]
	v_cndmask_b32_e64 v106, v106, v173, s[0:1]
	v_cndmask_b32_e64 v107, v107, v174, s[0:1]
	;; [unrolled: 1-line block ×3, first 2 shown]
	v_cmp_eq_u64_e64 s[0:1], 2, v[181:182]
	v_cndmask_b32_e64 v186, v82, v173, s[8:9]
	v_cndmask_b32_e64 v108, v108, v173, s[2:3]
	;; [unrolled: 1-line block ×4, first 2 shown]
	v_cndmask_b32_e32 v82, v111, v113, vcc
	v_cmp_eq_u64_e64 s[2:3], 3, v[181:182]
	v_cndmask_b32_e64 v188, v98, v173, s[4:5]
	v_cndmask_b32_e64 v179, v83, v174, s[8:9]
	;; [unrolled: 1-line block ×4, first 2 shown]
	v_cndmask_b32_e32 v83, v110, v112, vcc
	v_cmp_eq_u64_e64 s[4:5], 4, v[181:182]
	v_cndmask_b32_e64 v187, v100, v173, s[6:7]
	v_cndmask_b32_e64 v180, v101, v174, s[6:7]
	;; [unrolled: 1-line block ×4, first 2 shown]
	v_cmp_eq_u64_e64 s[6:7], 5, v[181:182]
	v_cndmask_b32_e64 v82, v82, v189, s[4:5]
	v_cndmask_b32_e64 v83, v83, v108, s[2:3]
	v_cmp_eq_u64_e64 s[8:9], 6, v[181:182]
	v_cndmask_b32_e64 v185, v84, v173, s[10:11]
	v_cndmask_b32_e64 v173, v85, v174, s[10:11]
	;; [unrolled: 1-line block ×4, first 2 shown]
	v_cmp_eq_u64_e64 s[10:11], 7, v[181:182]
	v_cndmask_b32_e64 v82, v82, v179, s[8:9]
	v_cndmask_b32_e64 v84, v83, v187, s[6:7]
	;; [unrolled: 1-line block ×5, first 2 shown]
	v_add_f64 v[82:83], v[82:83], -v[183:184]
	v_and_b32_e32 v84, -8, v215
	v_sub_co_u32_e64 v84, s[12:13], v175, v84
	v_subb_co_u32_e64 v85, s[12:13], v176, v221, s[12:13]
	v_cmp_eq_u64_e64 s[12:13], 0, v[181:182]
	v_fma_f64 v[98:99], v[169:170], v[207:208], v[162:163]
	v_cndmask_b32_e32 v112, v112, v82, vcc
	v_cndmask_b32_e32 v113, v113, v83, vcc
	v_cmp_eq_u64_e32 vcc, 1, v[84:85]
	v_cndmask_b32_e64 v106, v106, v82, s[0:1]
	v_cndmask_b32_e64 v107, v107, v83, s[0:1]
	;; [unrolled: 1-line block ×3, first 2 shown]
	v_cmp_eq_u64_e64 s[0:1], 2, v[84:85]
	v_fma_f64 v[100:101], v[171:172], v[203:204], v[167:168]
	v_cndmask_b32_e64 v162, v185, v82, s[10:11]
	v_cndmask_b32_e64 v163, v186, v82, s[8:9]
	;; [unrolled: 1-line block ×7, first 2 shown]
	v_cndmask_b32_e32 v82, v176, v113, vcc
	v_cmp_eq_u64_e64 s[2:3], 3, v[84:85]
	v_cndmask_b32_e64 v170, v173, v83, s[10:11]
	v_cndmask_b32_e64 v173, v179, v83, s[8:9]
	;; [unrolled: 1-line block ×5, first 2 shown]
	v_cndmask_b32_e32 v83, v169, v112, vcc
	v_cmp_eq_u64_e64 s[4:5], 4, v[84:85]
	v_cndmask_b32_e64 v82, v82, v109, s[2:3]
	v_cndmask_b32_e64 v83, v83, v106, s[0:1]
	v_cmp_eq_u64_e64 s[6:7], 5, v[84:85]
	v_cndmask_b32_e64 v82, v82, v175, s[4:5]
	v_cndmask_b32_e64 v83, v83, v108, s[2:3]
	;; [unrolled: 3-line block ×4, first 2 shown]
	v_cndmask_b32_e64 v83, v82, v170, s[10:11]
	v_cndmask_b32_e64 v82, v110, v163, s[8:9]
	;; [unrolled: 1-line block ×3, first 2 shown]
	v_add_f64 v[82:83], v[82:83], -v[100:101]
	v_add_co_u32_e64 v100, s[12:13], v177, v216
	v_addc_co_u32_e64 v101, s[12:13], 0, v178, s[12:13]
	v_and_b32_e32 v100, -8, v100
	v_sub_co_u32_e64 v110, s[12:13], v177, v100
	v_subb_co_u32_e64 v111, s[12:13], v178, v101, s[12:13]
	v_cmp_eq_u64_e64 s[12:13], 0, v[84:85]
	v_cndmask_b32_e32 v112, v112, v82, vcc
	v_cndmask_b32_e32 v113, v113, v83, vcc
	v_cmp_eq_u64_e32 vcc, 1, v[110:111]
	v_cndmask_b32_e64 v106, v106, v82, s[0:1]
	v_cndmask_b32_e64 v84, v170, v83, s[10:11]
	;; [unrolled: 1-line block ×5, first 2 shown]
	v_cmp_eq_u64_e64 s[0:1], 2, v[110:111]
	v_fma_f64 v[98:99], v[171:172], v[209:210], v[98:99]
	v_cndmask_b32_e64 v100, v162, v82, s[10:11]
	v_cndmask_b32_e64 v101, v163, v82, s[8:9]
	;; [unrolled: 1-line block ×7, first 2 shown]
	v_cndmask_b32_e32 v82, v173, v113, vcc
	v_cmp_eq_u64_e64 s[2:3], 3, v[110:111]
	v_cndmask_b32_e64 v171, v174, v83, s[6:7]
	v_cndmask_b32_e64 v172, v175, v83, s[4:5]
	;; [unrolled: 1-line block ×3, first 2 shown]
	v_cndmask_b32_e32 v83, v169, v112, vcc
	v_cmp_eq_u64_e64 s[4:5], 4, v[110:111]
	v_cndmask_b32_e64 v82, v82, v109, s[2:3]
	v_cndmask_b32_e64 v83, v83, v106, s[0:1]
	v_cmp_eq_u64_e64 s[6:7], 5, v[110:111]
	v_cndmask_b32_e64 v82, v82, v172, s[4:5]
	v_cndmask_b32_e64 v83, v83, v108, s[2:3]
	;; [unrolled: 3-line block ×4, first 2 shown]
	v_cndmask_b32_e64 v83, v82, v84, s[10:11]
	v_cndmask_b32_e64 v82, v85, v101, s[8:9]
	;; [unrolled: 1-line block ×3, first 2 shown]
	v_add_f64 v[162:163], v[82:83], -v[98:99]
	v_cndmask_b32_e32 v113, v113, v163, vcc
	v_cndmask_b32_e32 v112, v112, v162, vcc
	v_cmp_eq_u64_e32 vcc, 0, v[110:111]
	v_cndmask_b32_e64 v85, v84, v163, s[10:11]
	v_cndmask_b32_e64 v84, v100, v162, s[10:11]
	v_cndmask_b32_e64 v83, v170, v163, s[8:9]
	v_cndmask_b32_e64 v82, v101, v162, s[8:9]
	v_cndmask_b32_e64 v101, v171, v163, s[6:7]
	v_cndmask_b32_e64 v100, v167, v162, s[6:7]
	v_cndmask_b32_e64 v99, v172, v163, s[4:5]
	v_cndmask_b32_e64 v98, v168, v162, s[4:5]
	v_cndmask_b32_e64 v109, v109, v163, s[2:3]
	v_cndmask_b32_e64 v108, v108, v162, s[2:3]
	v_cndmask_b32_e64 v107, v107, v163, s[0:1]
	v_cndmask_b32_e64 v106, v106, v162, s[0:1]
	v_cndmask_b32_e32 v111, v173, v163, vcc
	v_cndmask_b32_e32 v110, v169, v162, vcc
.LBB1_14:                               ;   in Loop: Header=BB1_10 Depth=2
	s_or_b64 exec, exec, s[44:45]
	global_load_dwordx2 v[162:163], v[158:159], off offset:16
	v_mov_b32_e32 v167, s17
	s_waitcnt vmcnt(0)
	v_lshlrev_b64 v[162:163], 3, v[162:163]
	v_add_co_u32_e32 v162, vcc, s16, v162
	v_addc_co_u32_e32 v163, vcc, v167, v163, vcc
	global_load_dwordx2 v[167:168], v[160:161], off offset:16
	s_nop 0
	global_load_dwordx2 v[162:163], v[162:163], off
	s_waitcnt vmcnt(1)
	v_cmp_ne_u64_e32 vcc, 0, v[167:168]
	s_waitcnt vmcnt(0)
	v_cmp_lt_i64_e64 s[0:1], -1, v[162:163]
	s_and_b64 s[0:1], s[0:1], vcc
	s_and_saveexec_b64 s[44:45], s[0:1]
	s_cbranch_execz .LBB1_16
; %bb.15:                               ;   in Loop: Header=BB1_10 Depth=2
	v_lshlrev_b64 v[175:176], 5, v[162:163]
	v_mov_b32_e32 v168, s21
	v_add_co_u32_e32 v167, vcc, s20, v175
	v_addc_co_u32_e32 v168, vcc, v168, v176, vcc
	global_load_dwordx2 v[167:168], v[167:168], off
	v_mov_b32_e32 v177, s24
	v_mov_b32_e32 v178, s20
	;; [unrolled: 1-line block ×5, first 2 shown]
	v_lshlrev_b64 v[162:163], 8, v[162:163]
	v_mov_b32_e32 v183, s29
	v_mov_b32_e32 v215, s56
	s_waitcnt vmcnt(0)
	v_ashrrev_i32_e32 v171, 31, v168
	v_lshrrev_b32_e32 v171, 29, v171
	v_add_co_u32_e32 v167, vcc, v167, v171
	v_addc_co_u32_e32 v168, vcc, 0, v168, vcc
	v_ashrrev_i64 v[167:168], 3, v[167:168]
	v_cmp_eq_u64_e32 vcc, v[154:155], v[167:168]
	v_cndmask_b32_e32 v168, v178, v177, vcc
	v_cndmask_b32_e32 v167, v170, v169, vcc
	v_add_co_u32_e64 v171, s[0:1], v168, v175
	v_addc_co_u32_e64 v172, s[0:1], v167, v176, s[0:1]
	v_cndmask_b32_e32 v180, v169, v170, vcc
	global_load_dwordx4 v[167:170], v[171:172], off
	s_nop 0
	global_load_dwordx4 v[171:174], v[171:172], off offset:16
	v_cndmask_b32_e32 v177, v177, v178, vcc
	v_cndmask_b32_e32 v178, 0, v166, vcc
	v_add_co_u32_e32 v179, vcc, v177, v175
	v_addc_co_u32_e32 v180, vcc, v180, v176, vcc
	v_add_co_u32_e32 v184, vcc, s26, v178
	v_addc_co_u32_e32 v185, vcc, 0, v181, vcc
	global_load_dwordx4 v[175:178], v[179:180], off offset:16
	s_nop 0
	global_load_dwordx4 v[179:182], v[179:180], off
	v_add_co_u32_e32 v162, vcc, v184, v162
	v_addc_co_u32_e32 v163, vcc, v185, v163, vcc
	v_add_co_u32_e32 v162, vcc, s28, v162
	v_addc_co_u32_e32 v163, vcc, v163, v183, vcc
	global_load_dwordx4 v[183:186], v[162:163], off
	global_load_dwordx4 v[187:190], v[162:163], off offset:16
	global_load_dwordx4 v[191:194], v[162:163], off offset:32
	;; [unrolled: 1-line block ×7, first 2 shown]
	s_waitcnt vmcnt(11)
	v_lshlrev_b64 v[162:163], 3, v[167:168]
	v_lshlrev_b64 v[167:168], 3, v[169:170]
	v_add_co_u32_e32 v162, vcc, s55, v162
	v_addc_co_u32_e32 v163, vcc, v215, v163, vcc
	global_load_dwordx2 v[162:163], v[162:163], off
	v_add_co_u32_e32 v167, vcc, s55, v167
	v_addc_co_u32_e32 v168, vcc, v215, v168, vcc
	global_load_dwordx2 v[167:168], v[167:168], off
	s_waitcnt vmcnt(12)
	v_lshlrev_b64 v[169:170], 3, v[171:172]
	v_lshlrev_b64 v[171:172], 3, v[173:174]
	v_add_co_u32_e32 v169, vcc, s55, v169
	v_addc_co_u32_e32 v170, vcc, v215, v170, vcc
	global_load_dwordx2 v[169:170], v[169:170], off
	v_add_co_u32_e32 v171, vcc, s55, v171
	v_addc_co_u32_e32 v172, vcc, v215, v172, vcc
	global_load_dwordx2 v[171:172], v[171:172], off
	s_waitcnt vmcnt(12)
	v_ashrrev_i32_e32 v173, 31, v180
	v_ashrrev_i32_e32 v174, 31, v182
	v_lshrrev_b32_e32 v217, 29, v173
	v_lshrrev_b32_e32 v218, 29, v174
	s_waitcnt vmcnt(11)
	v_mul_f64 v[173:174], v[146:147], v[183:184]
	v_mul_f64 v[183:184], v[146:147], v[185:186]
	v_add_co_u32_e32 v217, vcc, v179, v217
	v_addc_co_u32_e32 v219, vcc, 0, v180, vcc
	v_ashrrev_i32_e32 v215, 31, v176
	v_add_co_u32_e32 v218, vcc, v181, v218
	v_lshrrev_b32_e32 v215, 29, v215
	s_waitcnt vmcnt(10)
	v_mul_f64 v[185:186], v[146:147], v[187:188]
	v_addc_co_u32_e32 v220, vcc, 0, v182, vcc
	v_add_co_u32_e32 v215, vcc, v175, v215
	v_mul_f64 v[187:188], v[146:147], v[189:190]
	s_waitcnt vmcnt(9)
	v_mul_f64 v[189:190], v[146:147], v[191:192]
	v_mul_f64 v[191:192], v[146:147], v[193:194]
	s_waitcnt vmcnt(8)
	v_mul_f64 v[193:194], v[146:147], v[195:196]
	;; [unrolled: 3-line block ×4, first 2 shown]
	v_mul_f64 v[203:204], v[146:147], v[205:206]
	v_addc_co_u32_e32 v221, vcc, 0, v176, vcc
	s_waitcnt vmcnt(4)
	v_mul_f64 v[205:206], v[146:147], v[211:212]
	v_mul_f64 v[211:212], v[146:147], v[213:214]
	v_and_b32_e32 v213, -8, v217
	v_sub_co_u32_e32 v179, vcc, v179, v213
	v_subb_co_u32_e32 v180, vcc, v180, v219, vcc
	v_cmp_eq_u64_e32 vcc, 1, v[179:180]
	v_cmp_eq_u64_e64 s[0:1], 2, v[179:180]
	v_cndmask_b32_e32 v213, v111, v113, vcc
	v_cmp_eq_u64_e64 s[2:3], 3, v[179:180]
	v_cndmask_b32_e64 v213, v213, v107, s[0:1]
	v_cmp_eq_u64_e64 s[4:5], 4, v[179:180]
	v_cmp_eq_u64_e64 s[6:7], 5, v[179:180]
	;; [unrolled: 1-line block ×4, first 2 shown]
	v_and_b32_e32 v214, -8, v218
	v_sub_co_u32_e64 v181, s[12:13], v181, v214
	v_subb_co_u32_e64 v182, s[12:13], v182, v220, s[12:13]
	v_cmp_eq_u64_e64 s[12:13], 0, v[179:180]
	v_mul_f64 v[207:208], v[146:147], v[207:208]
	v_ashrrev_i32_e32 v216, 31, v178
	v_lshrrev_b32_e32 v216, 29, v216
	v_mul_f64 v[209:210], v[146:147], v[209:210]
	s_waitcnt vmcnt(3)
	v_fma_f64 v[173:174], v[173:174], v[162:163], 0
	s_waitcnt vmcnt(2)
	v_fma_f64 v[173:174], v[183:184], v[167:168], v[173:174]
	v_cndmask_b32_e64 v183, v213, v109, s[2:3]
	v_cndmask_b32_e32 v184, v110, v112, vcc
	v_cndmask_b32_e64 v213, v183, v99, s[4:5]
	v_cndmask_b32_e64 v217, v184, v106, s[0:1]
	v_fma_f64 v[183:184], v[162:163], v[189:190], 0
	s_waitcnt vmcnt(1)
	v_fma_f64 v[173:174], v[185:186], v[169:170], v[173:174]
	v_cndmask_b32_e64 v185, v213, v101, s[6:7]
	v_cndmask_b32_e64 v186, v217, v108, s[2:3]
	;; [unrolled: 1-line block ×4, first 2 shown]
	v_fma_f64 v[185:186], v[162:163], v[197:198], 0
	v_fma_f64 v[183:184], v[167:168], v[191:192], v[183:184]
	;; [unrolled: 1-line block ×3, first 2 shown]
	s_waitcnt vmcnt(0)
	v_fma_f64 v[173:174], v[187:188], v[171:172], v[173:174]
	v_cndmask_b32_e64 v187, v190, v100, s[6:7]
	v_cndmask_b32_e64 v187, v187, v82, s[8:9]
	;; [unrolled: 1-line block ×4, first 2 shown]
	v_fma_f64 v[185:186], v[167:168], v[199:200], v[185:186]
	v_fma_f64 v[183:184], v[169:170], v[193:194], v[183:184]
	;; [unrolled: 1-line block ×3, first 2 shown]
	v_add_f64 v[173:174], v[187:188], -v[173:174]
	v_fma_f64 v[167:168], v[169:170], v[201:202], v[185:186]
	v_fma_f64 v[183:184], v[171:172], v[195:196], v[183:184]
	v_cndmask_b32_e32 v112, v112, v173, vcc
	v_cndmask_b32_e32 v113, v113, v174, vcc
	v_cmp_eq_u64_e32 vcc, 1, v[181:182]
	v_cndmask_b32_e64 v106, v106, v173, s[0:1]
	v_cndmask_b32_e64 v107, v107, v174, s[0:1]
	;; [unrolled: 1-line block ×3, first 2 shown]
	v_cmp_eq_u64_e64 s[0:1], 2, v[181:182]
	v_cndmask_b32_e64 v186, v82, v173, s[8:9]
	v_cndmask_b32_e64 v108, v108, v173, s[2:3]
	;; [unrolled: 1-line block ×4, first 2 shown]
	v_cndmask_b32_e32 v82, v111, v113, vcc
	v_cmp_eq_u64_e64 s[2:3], 3, v[181:182]
	v_cndmask_b32_e64 v188, v98, v173, s[4:5]
	v_cndmask_b32_e64 v179, v83, v174, s[8:9]
	v_cndmask_b32_e64 v189, v99, v174, s[4:5]
	v_cndmask_b32_e64 v82, v82, v107, s[0:1]
	v_cndmask_b32_e32 v83, v110, v112, vcc
	v_cmp_eq_u64_e64 s[4:5], 4, v[181:182]
	v_cndmask_b32_e64 v187, v100, v173, s[6:7]
	v_cndmask_b32_e64 v180, v101, v174, s[6:7]
	;; [unrolled: 1-line block ×4, first 2 shown]
	v_cmp_eq_u64_e64 s[6:7], 5, v[181:182]
	v_cndmask_b32_e64 v82, v82, v189, s[4:5]
	v_cndmask_b32_e64 v83, v83, v108, s[2:3]
	v_cmp_eq_u64_e64 s[8:9], 6, v[181:182]
	v_cndmask_b32_e64 v185, v84, v173, s[10:11]
	v_cndmask_b32_e64 v173, v85, v174, s[10:11]
	;; [unrolled: 1-line block ×4, first 2 shown]
	v_cmp_eq_u64_e64 s[10:11], 7, v[181:182]
	v_cndmask_b32_e64 v82, v82, v179, s[8:9]
	v_cndmask_b32_e64 v84, v83, v187, s[6:7]
	;; [unrolled: 1-line block ×5, first 2 shown]
	v_add_f64 v[82:83], v[82:83], -v[183:184]
	v_and_b32_e32 v84, -8, v215
	v_sub_co_u32_e64 v84, s[12:13], v175, v84
	v_subb_co_u32_e64 v85, s[12:13], v176, v221, s[12:13]
	v_cmp_eq_u64_e64 s[12:13], 0, v[181:182]
	v_fma_f64 v[98:99], v[169:170], v[207:208], v[162:163]
	v_cndmask_b32_e32 v112, v112, v82, vcc
	v_cndmask_b32_e32 v113, v113, v83, vcc
	v_cmp_eq_u64_e32 vcc, 1, v[84:85]
	v_cndmask_b32_e64 v106, v106, v82, s[0:1]
	v_cndmask_b32_e64 v107, v107, v83, s[0:1]
	;; [unrolled: 1-line block ×3, first 2 shown]
	v_cmp_eq_u64_e64 s[0:1], 2, v[84:85]
	v_fma_f64 v[100:101], v[171:172], v[203:204], v[167:168]
	v_cndmask_b32_e64 v162, v185, v82, s[10:11]
	v_cndmask_b32_e64 v163, v186, v82, s[8:9]
	;; [unrolled: 1-line block ×7, first 2 shown]
	v_cndmask_b32_e32 v82, v176, v113, vcc
	v_cmp_eq_u64_e64 s[2:3], 3, v[84:85]
	v_cndmask_b32_e64 v170, v173, v83, s[10:11]
	v_cndmask_b32_e64 v173, v179, v83, s[8:9]
	v_cndmask_b32_e64 v174, v180, v83, s[6:7]
	v_cndmask_b32_e64 v175, v189, v83, s[4:5]
	v_cndmask_b32_e64 v82, v82, v107, s[0:1]
	v_cndmask_b32_e32 v83, v169, v112, vcc
	v_cmp_eq_u64_e64 s[4:5], 4, v[84:85]
	v_cndmask_b32_e64 v82, v82, v109, s[2:3]
	v_cndmask_b32_e64 v83, v83, v106, s[0:1]
	v_cmp_eq_u64_e64 s[6:7], 5, v[84:85]
	v_cndmask_b32_e64 v82, v82, v175, s[4:5]
	v_cndmask_b32_e64 v83, v83, v108, s[2:3]
	v_cmp_eq_u64_e64 s[8:9], 6, v[84:85]
	v_cndmask_b32_e64 v82, v82, v174, s[6:7]
	v_cndmask_b32_e64 v83, v83, v168, s[4:5]
	v_cmp_eq_u64_e64 s[10:11], 7, v[84:85]
	v_cndmask_b32_e64 v82, v82, v173, s[8:9]
	v_cndmask_b32_e64 v110, v83, v167, s[6:7]
	v_cndmask_b32_e64 v83, v82, v170, s[10:11]
	v_cndmask_b32_e64 v82, v110, v163, s[8:9]
	;; [unrolled: 1-line block ×3, first 2 shown]
	v_add_f64 v[82:83], v[82:83], -v[100:101]
	v_add_co_u32_e64 v100, s[12:13], v177, v216
	v_addc_co_u32_e64 v101, s[12:13], 0, v178, s[12:13]
	v_and_b32_e32 v100, -8, v100
	v_sub_co_u32_e64 v110, s[12:13], v177, v100
	v_subb_co_u32_e64 v111, s[12:13], v178, v101, s[12:13]
	v_cmp_eq_u64_e64 s[12:13], 0, v[84:85]
	v_cndmask_b32_e32 v112, v112, v82, vcc
	v_cndmask_b32_e32 v113, v113, v83, vcc
	v_cmp_eq_u64_e32 vcc, 1, v[110:111]
	v_cndmask_b32_e64 v106, v106, v82, s[0:1]
	v_cndmask_b32_e64 v84, v170, v83, s[10:11]
	;; [unrolled: 1-line block ×5, first 2 shown]
	v_cmp_eq_u64_e64 s[0:1], 2, v[110:111]
	v_fma_f64 v[98:99], v[171:172], v[209:210], v[98:99]
	v_cndmask_b32_e64 v100, v162, v82, s[10:11]
	v_cndmask_b32_e64 v101, v163, v82, s[8:9]
	;; [unrolled: 1-line block ×7, first 2 shown]
	v_cndmask_b32_e32 v82, v173, v113, vcc
	v_cmp_eq_u64_e64 s[2:3], 3, v[110:111]
	v_cndmask_b32_e64 v171, v174, v83, s[6:7]
	v_cndmask_b32_e64 v172, v175, v83, s[4:5]
	;; [unrolled: 1-line block ×3, first 2 shown]
	v_cndmask_b32_e32 v83, v169, v112, vcc
	v_cmp_eq_u64_e64 s[4:5], 4, v[110:111]
	v_cndmask_b32_e64 v82, v82, v109, s[2:3]
	v_cndmask_b32_e64 v83, v83, v106, s[0:1]
	v_cmp_eq_u64_e64 s[6:7], 5, v[110:111]
	v_cndmask_b32_e64 v82, v82, v172, s[4:5]
	v_cndmask_b32_e64 v83, v83, v108, s[2:3]
	;; [unrolled: 3-line block ×4, first 2 shown]
	v_cndmask_b32_e64 v83, v82, v84, s[10:11]
	v_cndmask_b32_e64 v82, v85, v101, s[8:9]
	;; [unrolled: 1-line block ×3, first 2 shown]
	v_add_f64 v[162:163], v[82:83], -v[98:99]
	v_cndmask_b32_e32 v113, v113, v163, vcc
	v_cndmask_b32_e32 v112, v112, v162, vcc
	v_cmp_eq_u64_e32 vcc, 0, v[110:111]
	v_cndmask_b32_e64 v85, v84, v163, s[10:11]
	v_cndmask_b32_e64 v84, v100, v162, s[10:11]
	v_cndmask_b32_e64 v83, v170, v163, s[8:9]
	v_cndmask_b32_e64 v82, v101, v162, s[8:9]
	v_cndmask_b32_e64 v101, v171, v163, s[6:7]
	v_cndmask_b32_e64 v100, v167, v162, s[6:7]
	v_cndmask_b32_e64 v99, v172, v163, s[4:5]
	v_cndmask_b32_e64 v98, v168, v162, s[4:5]
	v_cndmask_b32_e64 v109, v109, v163, s[2:3]
	v_cndmask_b32_e64 v108, v108, v162, s[2:3]
	v_cndmask_b32_e64 v107, v107, v163, s[0:1]
	v_cndmask_b32_e64 v106, v106, v162, s[0:1]
	v_cndmask_b32_e32 v111, v173, v163, vcc
	v_cndmask_b32_e32 v110, v169, v162, vcc
.LBB1_16:                               ;   in Loop: Header=BB1_10 Depth=2
	s_or_b64 exec, exec, s[44:45]
	global_load_dwordx2 v[162:163], v[158:159], off offset:24
	v_mov_b32_e32 v167, s17
	s_waitcnt vmcnt(0)
	v_lshlrev_b64 v[162:163], 3, v[162:163]
	v_add_co_u32_e32 v162, vcc, s16, v162
	v_addc_co_u32_e32 v163, vcc, v167, v163, vcc
	global_load_dwordx2 v[167:168], v[160:161], off offset:24
	s_nop 0
	global_load_dwordx2 v[162:163], v[162:163], off
	s_waitcnt vmcnt(1)
	v_cmp_ne_u64_e32 vcc, 0, v[167:168]
	s_waitcnt vmcnt(0)
	v_cmp_lt_i64_e64 s[0:1], -1, v[162:163]
	s_and_b64 s[0:1], s[0:1], vcc
	s_and_saveexec_b64 s[44:45], s[0:1]
	s_cbranch_execz .LBB1_18
; %bb.17:                               ;   in Loop: Header=BB1_10 Depth=2
	v_lshlrev_b64 v[175:176], 5, v[162:163]
	v_mov_b32_e32 v168, s21
	v_add_co_u32_e32 v167, vcc, s20, v175
	v_addc_co_u32_e32 v168, vcc, v168, v176, vcc
	global_load_dwordx2 v[167:168], v[167:168], off
	v_mov_b32_e32 v177, s24
	v_mov_b32_e32 v178, s20
	;; [unrolled: 1-line block ×5, first 2 shown]
	v_lshlrev_b64 v[162:163], 8, v[162:163]
	v_mov_b32_e32 v183, s29
	v_mov_b32_e32 v215, s56
	s_waitcnt vmcnt(0)
	v_ashrrev_i32_e32 v171, 31, v168
	v_lshrrev_b32_e32 v171, 29, v171
	v_add_co_u32_e32 v167, vcc, v167, v171
	v_addc_co_u32_e32 v168, vcc, 0, v168, vcc
	v_ashrrev_i64 v[167:168], 3, v[167:168]
	v_cmp_eq_u64_e32 vcc, v[154:155], v[167:168]
	v_cndmask_b32_e32 v168, v178, v177, vcc
	v_cndmask_b32_e32 v167, v170, v169, vcc
	v_add_co_u32_e64 v171, s[0:1], v168, v175
	v_addc_co_u32_e64 v172, s[0:1], v167, v176, s[0:1]
	v_cndmask_b32_e32 v180, v169, v170, vcc
	global_load_dwordx4 v[167:170], v[171:172], off
	s_nop 0
	global_load_dwordx4 v[171:174], v[171:172], off offset:16
	v_cndmask_b32_e32 v177, v177, v178, vcc
	v_cndmask_b32_e32 v178, 0, v166, vcc
	v_add_co_u32_e32 v179, vcc, v177, v175
	v_addc_co_u32_e32 v180, vcc, v180, v176, vcc
	v_add_co_u32_e32 v184, vcc, s26, v178
	v_addc_co_u32_e32 v185, vcc, 0, v181, vcc
	global_load_dwordx4 v[175:178], v[179:180], off offset:16
	s_nop 0
	global_load_dwordx4 v[179:182], v[179:180], off
	v_add_co_u32_e32 v162, vcc, v184, v162
	v_addc_co_u32_e32 v163, vcc, v185, v163, vcc
	v_add_co_u32_e32 v162, vcc, s28, v162
	v_addc_co_u32_e32 v163, vcc, v163, v183, vcc
	global_load_dwordx4 v[183:186], v[162:163], off
	global_load_dwordx4 v[187:190], v[162:163], off offset:16
	global_load_dwordx4 v[191:194], v[162:163], off offset:32
	;; [unrolled: 1-line block ×7, first 2 shown]
	s_waitcnt vmcnt(11)
	v_lshlrev_b64 v[162:163], 3, v[167:168]
	v_lshlrev_b64 v[167:168], 3, v[169:170]
	v_add_co_u32_e32 v162, vcc, s55, v162
	v_addc_co_u32_e32 v163, vcc, v215, v163, vcc
	global_load_dwordx2 v[162:163], v[162:163], off
	v_add_co_u32_e32 v167, vcc, s55, v167
	v_addc_co_u32_e32 v168, vcc, v215, v168, vcc
	global_load_dwordx2 v[167:168], v[167:168], off
	s_waitcnt vmcnt(12)
	v_lshlrev_b64 v[169:170], 3, v[171:172]
	v_lshlrev_b64 v[171:172], 3, v[173:174]
	v_add_co_u32_e32 v169, vcc, s55, v169
	v_addc_co_u32_e32 v170, vcc, v215, v170, vcc
	global_load_dwordx2 v[169:170], v[169:170], off
	v_add_co_u32_e32 v171, vcc, s55, v171
	v_addc_co_u32_e32 v172, vcc, v215, v172, vcc
	global_load_dwordx2 v[171:172], v[171:172], off
	s_waitcnt vmcnt(12)
	v_ashrrev_i32_e32 v173, 31, v180
	v_ashrrev_i32_e32 v174, 31, v182
	v_lshrrev_b32_e32 v217, 29, v173
	v_lshrrev_b32_e32 v218, 29, v174
	s_waitcnt vmcnt(11)
	v_mul_f64 v[173:174], v[146:147], v[183:184]
	v_mul_f64 v[183:184], v[146:147], v[185:186]
	v_add_co_u32_e32 v217, vcc, v179, v217
	v_addc_co_u32_e32 v219, vcc, 0, v180, vcc
	v_ashrrev_i32_e32 v215, 31, v176
	v_add_co_u32_e32 v218, vcc, v181, v218
	v_lshrrev_b32_e32 v215, 29, v215
	s_waitcnt vmcnt(10)
	v_mul_f64 v[185:186], v[146:147], v[187:188]
	v_addc_co_u32_e32 v220, vcc, 0, v182, vcc
	v_add_co_u32_e32 v215, vcc, v175, v215
	v_mul_f64 v[187:188], v[146:147], v[189:190]
	s_waitcnt vmcnt(9)
	v_mul_f64 v[189:190], v[146:147], v[191:192]
	v_mul_f64 v[191:192], v[146:147], v[193:194]
	s_waitcnt vmcnt(8)
	v_mul_f64 v[193:194], v[146:147], v[195:196]
	;; [unrolled: 3-line block ×4, first 2 shown]
	v_mul_f64 v[203:204], v[146:147], v[205:206]
	v_addc_co_u32_e32 v221, vcc, 0, v176, vcc
	s_waitcnt vmcnt(4)
	v_mul_f64 v[205:206], v[146:147], v[211:212]
	v_mul_f64 v[211:212], v[146:147], v[213:214]
	v_and_b32_e32 v213, -8, v217
	v_sub_co_u32_e32 v179, vcc, v179, v213
	v_subb_co_u32_e32 v180, vcc, v180, v219, vcc
	v_cmp_eq_u64_e32 vcc, 1, v[179:180]
	v_cmp_eq_u64_e64 s[0:1], 2, v[179:180]
	v_cndmask_b32_e32 v213, v111, v113, vcc
	v_cmp_eq_u64_e64 s[2:3], 3, v[179:180]
	v_cndmask_b32_e64 v213, v213, v107, s[0:1]
	v_cmp_eq_u64_e64 s[4:5], 4, v[179:180]
	v_cmp_eq_u64_e64 s[6:7], 5, v[179:180]
	;; [unrolled: 1-line block ×4, first 2 shown]
	v_and_b32_e32 v214, -8, v218
	v_sub_co_u32_e64 v181, s[12:13], v181, v214
	v_subb_co_u32_e64 v182, s[12:13], v182, v220, s[12:13]
	v_cmp_eq_u64_e64 s[12:13], 0, v[179:180]
	v_mul_f64 v[207:208], v[146:147], v[207:208]
	v_ashrrev_i32_e32 v216, 31, v178
	v_lshrrev_b32_e32 v216, 29, v216
	v_mul_f64 v[209:210], v[146:147], v[209:210]
	s_waitcnt vmcnt(3)
	v_fma_f64 v[173:174], v[173:174], v[162:163], 0
	s_waitcnt vmcnt(2)
	v_fma_f64 v[173:174], v[183:184], v[167:168], v[173:174]
	v_cndmask_b32_e64 v183, v213, v109, s[2:3]
	v_cndmask_b32_e32 v184, v110, v112, vcc
	v_cndmask_b32_e64 v213, v183, v99, s[4:5]
	v_cndmask_b32_e64 v217, v184, v106, s[0:1]
	v_fma_f64 v[183:184], v[162:163], v[189:190], 0
	s_waitcnt vmcnt(1)
	v_fma_f64 v[173:174], v[185:186], v[169:170], v[173:174]
	v_cndmask_b32_e64 v185, v213, v101, s[6:7]
	v_cndmask_b32_e64 v186, v217, v108, s[2:3]
	;; [unrolled: 1-line block ×4, first 2 shown]
	v_fma_f64 v[185:186], v[162:163], v[197:198], 0
	v_fma_f64 v[183:184], v[167:168], v[191:192], v[183:184]
	;; [unrolled: 1-line block ×3, first 2 shown]
	s_waitcnt vmcnt(0)
	v_fma_f64 v[173:174], v[187:188], v[171:172], v[173:174]
	v_cndmask_b32_e64 v187, v190, v100, s[6:7]
	v_cndmask_b32_e64 v187, v187, v82, s[8:9]
	;; [unrolled: 1-line block ×4, first 2 shown]
	v_fma_f64 v[185:186], v[167:168], v[199:200], v[185:186]
	v_fma_f64 v[183:184], v[169:170], v[193:194], v[183:184]
	v_fma_f64 v[162:163], v[167:168], v[211:212], v[162:163]
	v_add_f64 v[173:174], v[187:188], -v[173:174]
	v_fma_f64 v[167:168], v[169:170], v[201:202], v[185:186]
	v_fma_f64 v[183:184], v[171:172], v[195:196], v[183:184]
	v_cndmask_b32_e32 v112, v112, v173, vcc
	v_cndmask_b32_e32 v113, v113, v174, vcc
	v_cmp_eq_u64_e32 vcc, 1, v[181:182]
	v_cndmask_b32_e64 v106, v106, v173, s[0:1]
	v_cndmask_b32_e64 v107, v107, v174, s[0:1]
	;; [unrolled: 1-line block ×3, first 2 shown]
	v_cmp_eq_u64_e64 s[0:1], 2, v[181:182]
	v_cndmask_b32_e64 v186, v82, v173, s[8:9]
	v_cndmask_b32_e64 v108, v108, v173, s[2:3]
	;; [unrolled: 1-line block ×4, first 2 shown]
	v_cndmask_b32_e32 v82, v111, v113, vcc
	v_cmp_eq_u64_e64 s[2:3], 3, v[181:182]
	v_cndmask_b32_e64 v188, v98, v173, s[4:5]
	v_cndmask_b32_e64 v179, v83, v174, s[8:9]
	;; [unrolled: 1-line block ×4, first 2 shown]
	v_cndmask_b32_e32 v83, v110, v112, vcc
	v_cmp_eq_u64_e64 s[4:5], 4, v[181:182]
	v_cndmask_b32_e64 v187, v100, v173, s[6:7]
	v_cndmask_b32_e64 v180, v101, v174, s[6:7]
	;; [unrolled: 1-line block ×4, first 2 shown]
	v_cmp_eq_u64_e64 s[6:7], 5, v[181:182]
	v_cndmask_b32_e64 v82, v82, v189, s[4:5]
	v_cndmask_b32_e64 v83, v83, v108, s[2:3]
	v_cmp_eq_u64_e64 s[8:9], 6, v[181:182]
	v_cndmask_b32_e64 v185, v84, v173, s[10:11]
	v_cndmask_b32_e64 v173, v85, v174, s[10:11]
	;; [unrolled: 1-line block ×4, first 2 shown]
	v_cmp_eq_u64_e64 s[10:11], 7, v[181:182]
	v_cndmask_b32_e64 v82, v82, v179, s[8:9]
	v_cndmask_b32_e64 v84, v83, v187, s[6:7]
	;; [unrolled: 1-line block ×5, first 2 shown]
	v_add_f64 v[82:83], v[82:83], -v[183:184]
	v_and_b32_e32 v84, -8, v215
	v_sub_co_u32_e64 v84, s[12:13], v175, v84
	v_subb_co_u32_e64 v85, s[12:13], v176, v221, s[12:13]
	v_cmp_eq_u64_e64 s[12:13], 0, v[181:182]
	v_fma_f64 v[98:99], v[169:170], v[207:208], v[162:163]
	v_cndmask_b32_e32 v112, v112, v82, vcc
	v_cndmask_b32_e32 v113, v113, v83, vcc
	v_cmp_eq_u64_e32 vcc, 1, v[84:85]
	v_cndmask_b32_e64 v106, v106, v82, s[0:1]
	v_cndmask_b32_e64 v107, v107, v83, s[0:1]
	;; [unrolled: 1-line block ×3, first 2 shown]
	v_cmp_eq_u64_e64 s[0:1], 2, v[84:85]
	v_fma_f64 v[100:101], v[171:172], v[203:204], v[167:168]
	v_cndmask_b32_e64 v162, v185, v82, s[10:11]
	v_cndmask_b32_e64 v163, v186, v82, s[8:9]
	;; [unrolled: 1-line block ×7, first 2 shown]
	v_cndmask_b32_e32 v82, v176, v113, vcc
	v_cmp_eq_u64_e64 s[2:3], 3, v[84:85]
	v_cndmask_b32_e64 v170, v173, v83, s[10:11]
	v_cndmask_b32_e64 v173, v179, v83, s[8:9]
	;; [unrolled: 1-line block ×5, first 2 shown]
	v_cndmask_b32_e32 v83, v169, v112, vcc
	v_cmp_eq_u64_e64 s[4:5], 4, v[84:85]
	v_cndmask_b32_e64 v82, v82, v109, s[2:3]
	v_cndmask_b32_e64 v83, v83, v106, s[0:1]
	v_cmp_eq_u64_e64 s[6:7], 5, v[84:85]
	v_cndmask_b32_e64 v82, v82, v175, s[4:5]
	v_cndmask_b32_e64 v83, v83, v108, s[2:3]
	;; [unrolled: 3-line block ×4, first 2 shown]
	v_cndmask_b32_e64 v83, v82, v170, s[10:11]
	v_cndmask_b32_e64 v82, v110, v163, s[8:9]
	v_cndmask_b32_e64 v82, v82, v162, s[10:11]
	v_add_f64 v[82:83], v[82:83], -v[100:101]
	v_add_co_u32_e64 v100, s[12:13], v177, v216
	v_addc_co_u32_e64 v101, s[12:13], 0, v178, s[12:13]
	v_and_b32_e32 v100, -8, v100
	v_sub_co_u32_e64 v110, s[12:13], v177, v100
	v_subb_co_u32_e64 v111, s[12:13], v178, v101, s[12:13]
	v_cmp_eq_u64_e64 s[12:13], 0, v[84:85]
	v_cndmask_b32_e32 v112, v112, v82, vcc
	v_cndmask_b32_e32 v113, v113, v83, vcc
	v_cmp_eq_u64_e32 vcc, 1, v[110:111]
	v_cndmask_b32_e64 v106, v106, v82, s[0:1]
	v_cndmask_b32_e64 v84, v170, v83, s[10:11]
	;; [unrolled: 1-line block ×5, first 2 shown]
	v_cmp_eq_u64_e64 s[0:1], 2, v[110:111]
	v_fma_f64 v[98:99], v[171:172], v[209:210], v[98:99]
	v_cndmask_b32_e64 v100, v162, v82, s[10:11]
	v_cndmask_b32_e64 v101, v163, v82, s[8:9]
	;; [unrolled: 1-line block ×7, first 2 shown]
	v_cndmask_b32_e32 v82, v173, v113, vcc
	v_cmp_eq_u64_e64 s[2:3], 3, v[110:111]
	v_cndmask_b32_e64 v171, v174, v83, s[6:7]
	v_cndmask_b32_e64 v172, v175, v83, s[4:5]
	;; [unrolled: 1-line block ×3, first 2 shown]
	v_cndmask_b32_e32 v83, v169, v112, vcc
	v_cmp_eq_u64_e64 s[4:5], 4, v[110:111]
	v_cndmask_b32_e64 v82, v82, v109, s[2:3]
	v_cndmask_b32_e64 v83, v83, v106, s[0:1]
	v_cmp_eq_u64_e64 s[6:7], 5, v[110:111]
	v_cndmask_b32_e64 v82, v82, v172, s[4:5]
	v_cndmask_b32_e64 v83, v83, v108, s[2:3]
	v_cmp_eq_u64_e64 s[8:9], 6, v[110:111]
	v_cndmask_b32_e64 v82, v82, v171, s[6:7]
	v_cndmask_b32_e64 v83, v83, v168, s[4:5]
	v_cmp_eq_u64_e64 s[10:11], 7, v[110:111]
	v_cndmask_b32_e64 v82, v82, v170, s[8:9]
	v_cndmask_b32_e64 v85, v83, v167, s[6:7]
	v_cndmask_b32_e64 v83, v82, v84, s[10:11]
	v_cndmask_b32_e64 v82, v85, v101, s[8:9]
	;; [unrolled: 1-line block ×3, first 2 shown]
	v_add_f64 v[162:163], v[82:83], -v[98:99]
	v_cndmask_b32_e32 v113, v113, v163, vcc
	v_cndmask_b32_e32 v112, v112, v162, vcc
	v_cmp_eq_u64_e32 vcc, 0, v[110:111]
	v_cndmask_b32_e64 v85, v84, v163, s[10:11]
	v_cndmask_b32_e64 v84, v100, v162, s[10:11]
	;; [unrolled: 1-line block ×12, first 2 shown]
	v_cndmask_b32_e32 v111, v173, v163, vcc
	v_cndmask_b32_e32 v110, v169, v162, vcc
.LBB1_18:                               ;   in Loop: Header=BB1_10 Depth=2
	s_or_b64 exec, exec, s[44:45]
	global_load_dwordx2 v[162:163], v[158:159], off offset:32
	v_mov_b32_e32 v167, s17
	s_waitcnt vmcnt(0)
	v_lshlrev_b64 v[162:163], 3, v[162:163]
	v_add_co_u32_e32 v162, vcc, s16, v162
	v_addc_co_u32_e32 v163, vcc, v167, v163, vcc
	global_load_dwordx2 v[167:168], v[160:161], off offset:32
	s_nop 0
	global_load_dwordx2 v[162:163], v[162:163], off
	s_waitcnt vmcnt(1)
	v_cmp_ne_u64_e32 vcc, 0, v[167:168]
	s_waitcnt vmcnt(0)
	v_cmp_lt_i64_e64 s[0:1], -1, v[162:163]
	s_and_b64 s[0:1], s[0:1], vcc
	s_and_saveexec_b64 s[44:45], s[0:1]
	s_cbranch_execz .LBB1_20
; %bb.19:                               ;   in Loop: Header=BB1_10 Depth=2
	v_lshlrev_b64 v[175:176], 5, v[162:163]
	v_mov_b32_e32 v168, s21
	v_add_co_u32_e32 v167, vcc, s20, v175
	v_addc_co_u32_e32 v168, vcc, v168, v176, vcc
	global_load_dwordx2 v[167:168], v[167:168], off
	v_mov_b32_e32 v177, s24
	v_mov_b32_e32 v178, s20
	;; [unrolled: 1-line block ×5, first 2 shown]
	v_lshlrev_b64 v[162:163], 8, v[162:163]
	v_mov_b32_e32 v183, s29
	v_mov_b32_e32 v215, s56
	s_waitcnt vmcnt(0)
	v_ashrrev_i32_e32 v171, 31, v168
	v_lshrrev_b32_e32 v171, 29, v171
	v_add_co_u32_e32 v167, vcc, v167, v171
	v_addc_co_u32_e32 v168, vcc, 0, v168, vcc
	v_ashrrev_i64 v[167:168], 3, v[167:168]
	v_cmp_eq_u64_e32 vcc, v[154:155], v[167:168]
	v_cndmask_b32_e32 v168, v178, v177, vcc
	v_cndmask_b32_e32 v167, v170, v169, vcc
	v_add_co_u32_e64 v171, s[0:1], v168, v175
	v_addc_co_u32_e64 v172, s[0:1], v167, v176, s[0:1]
	v_cndmask_b32_e32 v180, v169, v170, vcc
	global_load_dwordx4 v[167:170], v[171:172], off
	s_nop 0
	global_load_dwordx4 v[171:174], v[171:172], off offset:16
	v_cndmask_b32_e32 v177, v177, v178, vcc
	v_cndmask_b32_e32 v178, 0, v166, vcc
	v_add_co_u32_e32 v179, vcc, v177, v175
	v_addc_co_u32_e32 v180, vcc, v180, v176, vcc
	v_add_co_u32_e32 v184, vcc, s26, v178
	v_addc_co_u32_e32 v185, vcc, 0, v181, vcc
	global_load_dwordx4 v[175:178], v[179:180], off offset:16
	s_nop 0
	global_load_dwordx4 v[179:182], v[179:180], off
	v_add_co_u32_e32 v162, vcc, v184, v162
	v_addc_co_u32_e32 v163, vcc, v185, v163, vcc
	v_add_co_u32_e32 v162, vcc, s28, v162
	v_addc_co_u32_e32 v163, vcc, v163, v183, vcc
	global_load_dwordx4 v[183:186], v[162:163], off
	global_load_dwordx4 v[187:190], v[162:163], off offset:16
	global_load_dwordx4 v[191:194], v[162:163], off offset:32
	;; [unrolled: 1-line block ×7, first 2 shown]
	s_waitcnt vmcnt(11)
	v_lshlrev_b64 v[162:163], 3, v[167:168]
	v_lshlrev_b64 v[167:168], 3, v[169:170]
	v_add_co_u32_e32 v162, vcc, s55, v162
	v_addc_co_u32_e32 v163, vcc, v215, v163, vcc
	global_load_dwordx2 v[162:163], v[162:163], off
	v_add_co_u32_e32 v167, vcc, s55, v167
	v_addc_co_u32_e32 v168, vcc, v215, v168, vcc
	global_load_dwordx2 v[167:168], v[167:168], off
	s_waitcnt vmcnt(12)
	v_lshlrev_b64 v[169:170], 3, v[171:172]
	v_lshlrev_b64 v[171:172], 3, v[173:174]
	v_add_co_u32_e32 v169, vcc, s55, v169
	v_addc_co_u32_e32 v170, vcc, v215, v170, vcc
	global_load_dwordx2 v[169:170], v[169:170], off
	v_add_co_u32_e32 v171, vcc, s55, v171
	v_addc_co_u32_e32 v172, vcc, v215, v172, vcc
	global_load_dwordx2 v[171:172], v[171:172], off
	s_waitcnt vmcnt(12)
	v_ashrrev_i32_e32 v173, 31, v180
	v_ashrrev_i32_e32 v174, 31, v182
	v_lshrrev_b32_e32 v217, 29, v173
	v_lshrrev_b32_e32 v218, 29, v174
	s_waitcnt vmcnt(11)
	v_mul_f64 v[173:174], v[146:147], v[183:184]
	v_mul_f64 v[183:184], v[146:147], v[185:186]
	v_add_co_u32_e32 v217, vcc, v179, v217
	v_addc_co_u32_e32 v219, vcc, 0, v180, vcc
	v_ashrrev_i32_e32 v215, 31, v176
	v_add_co_u32_e32 v218, vcc, v181, v218
	v_lshrrev_b32_e32 v215, 29, v215
	s_waitcnt vmcnt(10)
	v_mul_f64 v[185:186], v[146:147], v[187:188]
	v_addc_co_u32_e32 v220, vcc, 0, v182, vcc
	v_add_co_u32_e32 v215, vcc, v175, v215
	v_mul_f64 v[187:188], v[146:147], v[189:190]
	s_waitcnt vmcnt(9)
	v_mul_f64 v[189:190], v[146:147], v[191:192]
	v_mul_f64 v[191:192], v[146:147], v[193:194]
	s_waitcnt vmcnt(8)
	v_mul_f64 v[193:194], v[146:147], v[195:196]
	;; [unrolled: 3-line block ×4, first 2 shown]
	v_mul_f64 v[203:204], v[146:147], v[205:206]
	v_addc_co_u32_e32 v221, vcc, 0, v176, vcc
	s_waitcnt vmcnt(4)
	v_mul_f64 v[205:206], v[146:147], v[211:212]
	v_mul_f64 v[211:212], v[146:147], v[213:214]
	v_and_b32_e32 v213, -8, v217
	v_sub_co_u32_e32 v179, vcc, v179, v213
	v_subb_co_u32_e32 v180, vcc, v180, v219, vcc
	v_cmp_eq_u64_e32 vcc, 1, v[179:180]
	v_cmp_eq_u64_e64 s[0:1], 2, v[179:180]
	v_cndmask_b32_e32 v213, v111, v113, vcc
	v_cmp_eq_u64_e64 s[2:3], 3, v[179:180]
	v_cndmask_b32_e64 v213, v213, v107, s[0:1]
	v_cmp_eq_u64_e64 s[4:5], 4, v[179:180]
	v_cmp_eq_u64_e64 s[6:7], 5, v[179:180]
	;; [unrolled: 1-line block ×4, first 2 shown]
	v_and_b32_e32 v214, -8, v218
	v_sub_co_u32_e64 v181, s[12:13], v181, v214
	v_subb_co_u32_e64 v182, s[12:13], v182, v220, s[12:13]
	v_cmp_eq_u64_e64 s[12:13], 0, v[179:180]
	v_mul_f64 v[207:208], v[146:147], v[207:208]
	v_ashrrev_i32_e32 v216, 31, v178
	v_lshrrev_b32_e32 v216, 29, v216
	v_mul_f64 v[209:210], v[146:147], v[209:210]
	s_waitcnt vmcnt(3)
	v_fma_f64 v[173:174], v[173:174], v[162:163], 0
	s_waitcnt vmcnt(2)
	v_fma_f64 v[173:174], v[183:184], v[167:168], v[173:174]
	v_cndmask_b32_e64 v183, v213, v109, s[2:3]
	v_cndmask_b32_e32 v184, v110, v112, vcc
	v_cndmask_b32_e64 v213, v183, v99, s[4:5]
	v_cndmask_b32_e64 v217, v184, v106, s[0:1]
	v_fma_f64 v[183:184], v[162:163], v[189:190], 0
	s_waitcnt vmcnt(1)
	v_fma_f64 v[173:174], v[185:186], v[169:170], v[173:174]
	v_cndmask_b32_e64 v185, v213, v101, s[6:7]
	v_cndmask_b32_e64 v186, v217, v108, s[2:3]
	;; [unrolled: 1-line block ×4, first 2 shown]
	v_fma_f64 v[185:186], v[162:163], v[197:198], 0
	v_fma_f64 v[183:184], v[167:168], v[191:192], v[183:184]
	;; [unrolled: 1-line block ×3, first 2 shown]
	s_waitcnt vmcnt(0)
	v_fma_f64 v[173:174], v[187:188], v[171:172], v[173:174]
	v_cndmask_b32_e64 v187, v190, v100, s[6:7]
	v_cndmask_b32_e64 v187, v187, v82, s[8:9]
	;; [unrolled: 1-line block ×4, first 2 shown]
	v_fma_f64 v[185:186], v[167:168], v[199:200], v[185:186]
	v_fma_f64 v[183:184], v[169:170], v[193:194], v[183:184]
	;; [unrolled: 1-line block ×3, first 2 shown]
	v_add_f64 v[173:174], v[187:188], -v[173:174]
	v_fma_f64 v[167:168], v[169:170], v[201:202], v[185:186]
	v_fma_f64 v[183:184], v[171:172], v[195:196], v[183:184]
	v_cndmask_b32_e32 v112, v112, v173, vcc
	v_cndmask_b32_e32 v113, v113, v174, vcc
	v_cmp_eq_u64_e32 vcc, 1, v[181:182]
	v_cndmask_b32_e64 v106, v106, v173, s[0:1]
	v_cndmask_b32_e64 v107, v107, v174, s[0:1]
	;; [unrolled: 1-line block ×3, first 2 shown]
	v_cmp_eq_u64_e64 s[0:1], 2, v[181:182]
	v_cndmask_b32_e64 v186, v82, v173, s[8:9]
	v_cndmask_b32_e64 v108, v108, v173, s[2:3]
	;; [unrolled: 1-line block ×4, first 2 shown]
	v_cndmask_b32_e32 v82, v111, v113, vcc
	v_cmp_eq_u64_e64 s[2:3], 3, v[181:182]
	v_cndmask_b32_e64 v188, v98, v173, s[4:5]
	v_cndmask_b32_e64 v179, v83, v174, s[8:9]
	v_cndmask_b32_e64 v189, v99, v174, s[4:5]
	v_cndmask_b32_e64 v82, v82, v107, s[0:1]
	v_cndmask_b32_e32 v83, v110, v112, vcc
	v_cmp_eq_u64_e64 s[4:5], 4, v[181:182]
	v_cndmask_b32_e64 v187, v100, v173, s[6:7]
	v_cndmask_b32_e64 v180, v101, v174, s[6:7]
	v_cndmask_b32_e64 v82, v82, v109, s[2:3]
	v_cndmask_b32_e64 v83, v83, v106, s[0:1]
	v_cmp_eq_u64_e64 s[6:7], 5, v[181:182]
	v_cndmask_b32_e64 v82, v82, v189, s[4:5]
	v_cndmask_b32_e64 v83, v83, v108, s[2:3]
	v_cmp_eq_u64_e64 s[8:9], 6, v[181:182]
	v_cndmask_b32_e64 v185, v84, v173, s[10:11]
	v_cndmask_b32_e64 v173, v85, v174, s[10:11]
	v_cndmask_b32_e64 v82, v82, v180, s[6:7]
	v_cndmask_b32_e64 v83, v83, v188, s[4:5]
	v_cmp_eq_u64_e64 s[10:11], 7, v[181:182]
	v_cndmask_b32_e64 v82, v82, v179, s[8:9]
	v_cndmask_b32_e64 v84, v83, v187, s[6:7]
	;; [unrolled: 1-line block ×5, first 2 shown]
	v_add_f64 v[82:83], v[82:83], -v[183:184]
	v_and_b32_e32 v84, -8, v215
	v_sub_co_u32_e64 v84, s[12:13], v175, v84
	v_subb_co_u32_e64 v85, s[12:13], v176, v221, s[12:13]
	v_cmp_eq_u64_e64 s[12:13], 0, v[181:182]
	v_fma_f64 v[98:99], v[169:170], v[207:208], v[162:163]
	v_cndmask_b32_e32 v112, v112, v82, vcc
	v_cndmask_b32_e32 v113, v113, v83, vcc
	v_cmp_eq_u64_e32 vcc, 1, v[84:85]
	v_cndmask_b32_e64 v106, v106, v82, s[0:1]
	v_cndmask_b32_e64 v107, v107, v83, s[0:1]
	;; [unrolled: 1-line block ×3, first 2 shown]
	v_cmp_eq_u64_e64 s[0:1], 2, v[84:85]
	v_fma_f64 v[100:101], v[171:172], v[203:204], v[167:168]
	v_cndmask_b32_e64 v162, v185, v82, s[10:11]
	v_cndmask_b32_e64 v163, v186, v82, s[8:9]
	;; [unrolled: 1-line block ×7, first 2 shown]
	v_cndmask_b32_e32 v82, v176, v113, vcc
	v_cmp_eq_u64_e64 s[2:3], 3, v[84:85]
	v_cndmask_b32_e64 v170, v173, v83, s[10:11]
	v_cndmask_b32_e64 v173, v179, v83, s[8:9]
	;; [unrolled: 1-line block ×5, first 2 shown]
	v_cndmask_b32_e32 v83, v169, v112, vcc
	v_cmp_eq_u64_e64 s[4:5], 4, v[84:85]
	v_cndmask_b32_e64 v82, v82, v109, s[2:3]
	v_cndmask_b32_e64 v83, v83, v106, s[0:1]
	v_cmp_eq_u64_e64 s[6:7], 5, v[84:85]
	v_cndmask_b32_e64 v82, v82, v175, s[4:5]
	v_cndmask_b32_e64 v83, v83, v108, s[2:3]
	;; [unrolled: 3-line block ×4, first 2 shown]
	v_cndmask_b32_e64 v83, v82, v170, s[10:11]
	v_cndmask_b32_e64 v82, v110, v163, s[8:9]
	;; [unrolled: 1-line block ×3, first 2 shown]
	v_add_f64 v[82:83], v[82:83], -v[100:101]
	v_add_co_u32_e64 v100, s[12:13], v177, v216
	v_addc_co_u32_e64 v101, s[12:13], 0, v178, s[12:13]
	v_and_b32_e32 v100, -8, v100
	v_sub_co_u32_e64 v110, s[12:13], v177, v100
	v_subb_co_u32_e64 v111, s[12:13], v178, v101, s[12:13]
	v_cmp_eq_u64_e64 s[12:13], 0, v[84:85]
	v_cndmask_b32_e32 v112, v112, v82, vcc
	v_cndmask_b32_e32 v113, v113, v83, vcc
	v_cmp_eq_u64_e32 vcc, 1, v[110:111]
	v_cndmask_b32_e64 v106, v106, v82, s[0:1]
	v_cndmask_b32_e64 v84, v170, v83, s[10:11]
	;; [unrolled: 1-line block ×5, first 2 shown]
	v_cmp_eq_u64_e64 s[0:1], 2, v[110:111]
	v_fma_f64 v[98:99], v[171:172], v[209:210], v[98:99]
	v_cndmask_b32_e64 v100, v162, v82, s[10:11]
	v_cndmask_b32_e64 v101, v163, v82, s[8:9]
	;; [unrolled: 1-line block ×7, first 2 shown]
	v_cndmask_b32_e32 v82, v173, v113, vcc
	v_cmp_eq_u64_e64 s[2:3], 3, v[110:111]
	v_cndmask_b32_e64 v171, v174, v83, s[6:7]
	v_cndmask_b32_e64 v172, v175, v83, s[4:5]
	;; [unrolled: 1-line block ×3, first 2 shown]
	v_cndmask_b32_e32 v83, v169, v112, vcc
	v_cmp_eq_u64_e64 s[4:5], 4, v[110:111]
	v_cndmask_b32_e64 v82, v82, v109, s[2:3]
	v_cndmask_b32_e64 v83, v83, v106, s[0:1]
	v_cmp_eq_u64_e64 s[6:7], 5, v[110:111]
	v_cndmask_b32_e64 v82, v82, v172, s[4:5]
	v_cndmask_b32_e64 v83, v83, v108, s[2:3]
	;; [unrolled: 3-line block ×4, first 2 shown]
	v_cndmask_b32_e64 v83, v82, v84, s[10:11]
	v_cndmask_b32_e64 v82, v85, v101, s[8:9]
	;; [unrolled: 1-line block ×3, first 2 shown]
	v_add_f64 v[162:163], v[82:83], -v[98:99]
	v_cndmask_b32_e32 v113, v113, v163, vcc
	v_cndmask_b32_e32 v112, v112, v162, vcc
	v_cmp_eq_u64_e32 vcc, 0, v[110:111]
	v_cndmask_b32_e64 v85, v84, v163, s[10:11]
	v_cndmask_b32_e64 v84, v100, v162, s[10:11]
	v_cndmask_b32_e64 v83, v170, v163, s[8:9]
	v_cndmask_b32_e64 v82, v101, v162, s[8:9]
	v_cndmask_b32_e64 v101, v171, v163, s[6:7]
	v_cndmask_b32_e64 v100, v167, v162, s[6:7]
	v_cndmask_b32_e64 v99, v172, v163, s[4:5]
	v_cndmask_b32_e64 v98, v168, v162, s[4:5]
	v_cndmask_b32_e64 v109, v109, v163, s[2:3]
	v_cndmask_b32_e64 v108, v108, v162, s[2:3]
	v_cndmask_b32_e64 v107, v107, v163, s[0:1]
	v_cndmask_b32_e64 v106, v106, v162, s[0:1]
	v_cndmask_b32_e32 v111, v173, v163, vcc
	v_cndmask_b32_e32 v110, v169, v162, vcc
.LBB1_20:                               ;   in Loop: Header=BB1_10 Depth=2
	s_or_b64 exec, exec, s[44:45]
	global_load_dwordx2 v[158:159], v[158:159], off offset:40
	v_mov_b32_e32 v162, s17
	s_waitcnt vmcnt(0)
	v_lshlrev_b64 v[158:159], 3, v[158:159]
	v_add_co_u32_e32 v158, vcc, s16, v158
	v_addc_co_u32_e32 v159, vcc, v162, v159, vcc
	global_load_dwordx2 v[160:161], v[160:161], off offset:40
	s_nop 0
	global_load_dwordx2 v[158:159], v[158:159], off
	s_waitcnt vmcnt(1)
	v_cmp_ne_u64_e32 vcc, 0, v[160:161]
	s_waitcnt vmcnt(0)
	v_cmp_lt_i64_e64 s[0:1], -1, v[158:159]
	s_and_b64 s[0:1], s[0:1], vcc
	s_and_saveexec_b64 s[44:45], s[0:1]
	s_cbranch_execz .LBB1_9
; %bb.21:                               ;   in Loop: Header=BB1_10 Depth=2
	v_lshlrev_b64 v[171:172], 5, v[158:159]
	v_mov_b32_e32 v161, s21
	v_add_co_u32_e32 v160, vcc, s20, v171
	v_addc_co_u32_e32 v161, vcc, v161, v172, vcc
	global_load_dwordx2 v[160:161], v[160:161], off
	v_mov_b32_e32 v173, s24
	v_mov_b32_e32 v174, s20
	;; [unrolled: 1-line block ×5, first 2 shown]
	v_lshlrev_b64 v[158:159], 8, v[158:159]
	v_mov_b32_e32 v179, s29
	v_mov_b32_e32 v211, s56
	s_waitcnt vmcnt(0)
	v_ashrrev_i32_e32 v167, 31, v161
	v_lshrrev_b32_e32 v167, 29, v167
	v_add_co_u32_e32 v160, vcc, v160, v167
	v_addc_co_u32_e32 v161, vcc, 0, v161, vcc
	v_ashrrev_i64 v[160:161], 3, v[160:161]
	v_cmp_eq_u64_e32 vcc, v[154:155], v[160:161]
	v_cndmask_b32_e32 v161, v174, v173, vcc
	v_cndmask_b32_e32 v160, v163, v162, vcc
	v_add_co_u32_e64 v167, s[0:1], v161, v171
	v_addc_co_u32_e64 v168, s[0:1], v160, v172, s[0:1]
	v_cndmask_b32_e32 v176, v162, v163, vcc
	global_load_dwordx4 v[160:163], v[167:168], off
	s_nop 0
	global_load_dwordx4 v[167:170], v[167:168], off offset:16
	v_cndmask_b32_e32 v173, v173, v174, vcc
	v_cndmask_b32_e32 v174, 0, v166, vcc
	v_add_co_u32_e32 v175, vcc, v173, v171
	v_addc_co_u32_e32 v176, vcc, v176, v172, vcc
	v_add_co_u32_e32 v180, vcc, s26, v174
	v_addc_co_u32_e32 v181, vcc, 0, v177, vcc
	global_load_dwordx4 v[171:174], v[175:176], off offset:16
	s_nop 0
	global_load_dwordx4 v[175:178], v[175:176], off
	v_add_co_u32_e32 v158, vcc, v180, v158
	v_addc_co_u32_e32 v159, vcc, v181, v159, vcc
	v_add_co_u32_e32 v158, vcc, s28, v158
	v_addc_co_u32_e32 v159, vcc, v159, v179, vcc
	global_load_dwordx4 v[179:182], v[158:159], off
	global_load_dwordx4 v[183:186], v[158:159], off offset:16
	global_load_dwordx4 v[187:190], v[158:159], off offset:32
	;; [unrolled: 1-line block ×7, first 2 shown]
	s_waitcnt vmcnt(11)
	v_lshlrev_b64 v[158:159], 3, v[160:161]
	v_lshlrev_b64 v[160:161], 3, v[162:163]
	v_add_co_u32_e32 v158, vcc, s55, v158
	v_addc_co_u32_e32 v159, vcc, v211, v159, vcc
	global_load_dwordx2 v[158:159], v[158:159], off
	v_add_co_u32_e32 v160, vcc, s55, v160
	v_addc_co_u32_e32 v161, vcc, v211, v161, vcc
	global_load_dwordx2 v[160:161], v[160:161], off
	s_waitcnt vmcnt(12)
	v_lshlrev_b64 v[162:163], 3, v[167:168]
	v_lshlrev_b64 v[167:168], 3, v[169:170]
	v_add_co_u32_e32 v162, vcc, s55, v162
	v_addc_co_u32_e32 v163, vcc, v211, v163, vcc
	global_load_dwordx2 v[162:163], v[162:163], off
	v_add_co_u32_e32 v167, vcc, s55, v167
	v_addc_co_u32_e32 v168, vcc, v211, v168, vcc
	global_load_dwordx2 v[167:168], v[167:168], off
	s_waitcnt vmcnt(12)
	v_ashrrev_i32_e32 v169, 31, v176
	v_ashrrev_i32_e32 v170, 31, v178
	v_lshrrev_b32_e32 v213, 29, v169
	v_lshrrev_b32_e32 v214, 29, v170
	s_waitcnt vmcnt(11)
	v_mul_f64 v[169:170], v[146:147], v[179:180]
	v_mul_f64 v[179:180], v[146:147], v[181:182]
	v_add_co_u32_e32 v213, vcc, v175, v213
	v_addc_co_u32_e32 v215, vcc, 0, v176, vcc
	v_ashrrev_i32_e32 v211, 31, v172
	v_add_co_u32_e32 v214, vcc, v177, v214
	v_lshrrev_b32_e32 v211, 29, v211
	s_waitcnt vmcnt(10)
	v_mul_f64 v[181:182], v[146:147], v[183:184]
	v_addc_co_u32_e32 v216, vcc, 0, v178, vcc
	v_add_co_u32_e32 v211, vcc, v171, v211
	v_mul_f64 v[183:184], v[146:147], v[185:186]
	s_waitcnt vmcnt(9)
	v_mul_f64 v[185:186], v[146:147], v[187:188]
	v_mul_f64 v[187:188], v[146:147], v[189:190]
	s_waitcnt vmcnt(8)
	v_mul_f64 v[189:190], v[146:147], v[191:192]
	;; [unrolled: 3-line block ×4, first 2 shown]
	v_mul_f64 v[199:200], v[146:147], v[201:202]
	v_addc_co_u32_e32 v217, vcc, 0, v172, vcc
	s_waitcnt vmcnt(4)
	v_mul_f64 v[201:202], v[146:147], v[207:208]
	v_mul_f64 v[207:208], v[146:147], v[209:210]
	v_and_b32_e32 v209, -8, v213
	v_sub_co_u32_e32 v175, vcc, v175, v209
	v_subb_co_u32_e32 v176, vcc, v176, v215, vcc
	v_cmp_eq_u64_e32 vcc, 1, v[175:176]
	v_cmp_eq_u64_e64 s[0:1], 2, v[175:176]
	v_cndmask_b32_e32 v209, v111, v113, vcc
	v_cmp_eq_u64_e64 s[2:3], 3, v[175:176]
	v_cndmask_b32_e64 v209, v209, v107, s[0:1]
	v_cmp_eq_u64_e64 s[4:5], 4, v[175:176]
	v_cmp_eq_u64_e64 s[6:7], 5, v[175:176]
	v_cmp_eq_u64_e64 s[8:9], 6, v[175:176]
	v_cmp_eq_u64_e64 s[10:11], 7, v[175:176]
	v_and_b32_e32 v210, -8, v214
	v_sub_co_u32_e64 v177, s[12:13], v177, v210
	v_subb_co_u32_e64 v178, s[12:13], v178, v216, s[12:13]
	v_cmp_eq_u64_e64 s[12:13], 0, v[175:176]
	v_mul_f64 v[203:204], v[146:147], v[203:204]
	v_ashrrev_i32_e32 v212, 31, v174
	v_lshrrev_b32_e32 v212, 29, v212
	v_mul_f64 v[205:206], v[146:147], v[205:206]
	s_waitcnt vmcnt(3)
	v_fma_f64 v[169:170], v[169:170], v[158:159], 0
	s_waitcnt vmcnt(2)
	v_fma_f64 v[169:170], v[179:180], v[160:161], v[169:170]
	v_cndmask_b32_e64 v179, v209, v109, s[2:3]
	v_cndmask_b32_e32 v180, v110, v112, vcc
	v_cndmask_b32_e64 v209, v179, v99, s[4:5]
	v_cndmask_b32_e64 v213, v180, v106, s[0:1]
	v_fma_f64 v[179:180], v[158:159], v[185:186], 0
	s_waitcnt vmcnt(1)
	v_fma_f64 v[169:170], v[181:182], v[162:163], v[169:170]
	v_cndmask_b32_e64 v181, v209, v101, s[6:7]
	v_cndmask_b32_e64 v182, v213, v108, s[2:3]
	;; [unrolled: 1-line block ×4, first 2 shown]
	v_fma_f64 v[181:182], v[158:159], v[193:194], 0
	v_fma_f64 v[179:180], v[160:161], v[187:188], v[179:180]
	;; [unrolled: 1-line block ×3, first 2 shown]
	s_waitcnt vmcnt(0)
	v_fma_f64 v[169:170], v[183:184], v[167:168], v[169:170]
	v_cndmask_b32_e64 v183, v186, v100, s[6:7]
	v_cndmask_b32_e64 v183, v183, v82, s[8:9]
	;; [unrolled: 1-line block ×4, first 2 shown]
	v_fma_f64 v[181:182], v[160:161], v[195:196], v[181:182]
	v_fma_f64 v[179:180], v[162:163], v[189:190], v[179:180]
	;; [unrolled: 1-line block ×3, first 2 shown]
	v_add_f64 v[169:170], v[183:184], -v[169:170]
	v_fma_f64 v[160:161], v[162:163], v[197:198], v[181:182]
	v_fma_f64 v[179:180], v[167:168], v[191:192], v[179:180]
	v_cndmask_b32_e32 v112, v112, v169, vcc
	v_cndmask_b32_e32 v113, v113, v170, vcc
	v_cmp_eq_u64_e32 vcc, 1, v[177:178]
	v_cndmask_b32_e64 v106, v106, v169, s[0:1]
	v_cndmask_b32_e64 v107, v107, v170, s[0:1]
	;; [unrolled: 1-line block ×3, first 2 shown]
	v_cmp_eq_u64_e64 s[0:1], 2, v[177:178]
	v_cndmask_b32_e64 v182, v82, v169, s[8:9]
	v_cndmask_b32_e64 v108, v108, v169, s[2:3]
	;; [unrolled: 1-line block ×4, first 2 shown]
	v_cndmask_b32_e32 v82, v111, v113, vcc
	v_cmp_eq_u64_e64 s[2:3], 3, v[177:178]
	v_cndmask_b32_e64 v184, v98, v169, s[4:5]
	v_cndmask_b32_e64 v175, v83, v170, s[8:9]
	;; [unrolled: 1-line block ×4, first 2 shown]
	v_cndmask_b32_e32 v83, v110, v112, vcc
	v_cmp_eq_u64_e64 s[4:5], 4, v[177:178]
	v_cndmask_b32_e64 v183, v100, v169, s[6:7]
	v_cndmask_b32_e64 v176, v101, v170, s[6:7]
	;; [unrolled: 1-line block ×4, first 2 shown]
	v_cmp_eq_u64_e64 s[6:7], 5, v[177:178]
	v_cndmask_b32_e64 v82, v82, v185, s[4:5]
	v_cndmask_b32_e64 v83, v83, v108, s[2:3]
	v_cmp_eq_u64_e64 s[8:9], 6, v[177:178]
	v_cndmask_b32_e64 v181, v84, v169, s[10:11]
	v_cndmask_b32_e64 v169, v85, v170, s[10:11]
	;; [unrolled: 1-line block ×4, first 2 shown]
	v_cmp_eq_u64_e64 s[10:11], 7, v[177:178]
	v_cndmask_b32_e64 v82, v82, v175, s[8:9]
	v_cndmask_b32_e64 v84, v83, v183, s[6:7]
	;; [unrolled: 1-line block ×5, first 2 shown]
	v_add_f64 v[82:83], v[82:83], -v[179:180]
	v_and_b32_e32 v84, -8, v211
	v_sub_co_u32_e64 v84, s[12:13], v171, v84
	v_subb_co_u32_e64 v85, s[12:13], v172, v217, s[12:13]
	v_cmp_eq_u64_e64 s[12:13], 0, v[177:178]
	v_fma_f64 v[98:99], v[162:163], v[203:204], v[158:159]
	v_cndmask_b32_e32 v112, v112, v82, vcc
	v_cndmask_b32_e32 v113, v113, v83, vcc
	v_cmp_eq_u64_e32 vcc, 1, v[84:85]
	v_cndmask_b32_e64 v106, v106, v82, s[0:1]
	v_cndmask_b32_e64 v107, v107, v83, s[0:1]
	;; [unrolled: 1-line block ×3, first 2 shown]
	v_cmp_eq_u64_e64 s[0:1], 2, v[84:85]
	v_fma_f64 v[100:101], v[167:168], v[199:200], v[160:161]
	v_cndmask_b32_e64 v158, v181, v82, s[10:11]
	v_cndmask_b32_e64 v159, v182, v82, s[8:9]
	;; [unrolled: 1-line block ×7, first 2 shown]
	v_cndmask_b32_e32 v82, v172, v113, vcc
	v_cmp_eq_u64_e64 s[2:3], 3, v[84:85]
	v_cndmask_b32_e64 v163, v169, v83, s[10:11]
	v_cndmask_b32_e64 v169, v175, v83, s[8:9]
	;; [unrolled: 1-line block ×5, first 2 shown]
	v_cndmask_b32_e32 v83, v162, v112, vcc
	v_cmp_eq_u64_e64 s[4:5], 4, v[84:85]
	v_cndmask_b32_e64 v82, v82, v109, s[2:3]
	v_cndmask_b32_e64 v83, v83, v106, s[0:1]
	v_cmp_eq_u64_e64 s[6:7], 5, v[84:85]
	v_cndmask_b32_e64 v82, v82, v171, s[4:5]
	v_cndmask_b32_e64 v83, v83, v108, s[2:3]
	;; [unrolled: 3-line block ×4, first 2 shown]
	v_cndmask_b32_e64 v83, v82, v163, s[10:11]
	v_cndmask_b32_e64 v82, v110, v159, s[8:9]
	;; [unrolled: 1-line block ×3, first 2 shown]
	v_add_f64 v[82:83], v[82:83], -v[100:101]
	v_add_co_u32_e64 v100, s[12:13], v173, v212
	v_addc_co_u32_e64 v101, s[12:13], 0, v174, s[12:13]
	v_and_b32_e32 v100, -8, v100
	v_sub_co_u32_e64 v110, s[12:13], v173, v100
	v_subb_co_u32_e64 v111, s[12:13], v174, v101, s[12:13]
	v_cmp_eq_u64_e64 s[12:13], 0, v[84:85]
	v_cndmask_b32_e32 v112, v112, v82, vcc
	v_cndmask_b32_e32 v113, v113, v83, vcc
	v_cmp_eq_u64_e32 vcc, 1, v[110:111]
	v_cndmask_b32_e64 v106, v106, v82, s[0:1]
	v_cndmask_b32_e64 v84, v163, v83, s[10:11]
	;; [unrolled: 1-line block ×5, first 2 shown]
	v_cmp_eq_u64_e64 s[0:1], 2, v[110:111]
	v_fma_f64 v[98:99], v[167:168], v[205:206], v[98:99]
	v_cndmask_b32_e64 v100, v158, v82, s[10:11]
	v_cndmask_b32_e64 v101, v159, v82, s[8:9]
	;; [unrolled: 1-line block ×7, first 2 shown]
	v_cndmask_b32_e32 v82, v169, v113, vcc
	v_cmp_eq_u64_e64 s[2:3], 3, v[110:111]
	v_cndmask_b32_e64 v167, v170, v83, s[6:7]
	v_cndmask_b32_e64 v168, v171, v83, s[4:5]
	v_cndmask_b32_e64 v82, v82, v107, s[0:1]
	v_cndmask_b32_e32 v83, v162, v112, vcc
	v_cmp_eq_u64_e64 s[4:5], 4, v[110:111]
	v_cndmask_b32_e64 v82, v82, v109, s[2:3]
	v_cndmask_b32_e64 v83, v83, v106, s[0:1]
	v_cmp_eq_u64_e64 s[6:7], 5, v[110:111]
	v_cndmask_b32_e64 v82, v82, v168, s[4:5]
	v_cndmask_b32_e64 v83, v83, v108, s[2:3]
	v_cmp_eq_u64_e64 s[8:9], 6, v[110:111]
	v_cndmask_b32_e64 v82, v82, v167, s[6:7]
	v_cndmask_b32_e64 v83, v83, v161, s[4:5]
	v_cmp_eq_u64_e64 s[10:11], 7, v[110:111]
	v_cndmask_b32_e64 v82, v82, v163, s[8:9]
	v_cndmask_b32_e64 v85, v83, v160, s[6:7]
	v_cndmask_b32_e64 v83, v82, v84, s[10:11]
	v_cndmask_b32_e64 v82, v85, v101, s[8:9]
	;; [unrolled: 1-line block ×3, first 2 shown]
	v_add_f64 v[158:159], v[82:83], -v[98:99]
	v_cndmask_b32_e32 v113, v113, v159, vcc
	v_cndmask_b32_e32 v112, v112, v158, vcc
	v_cmp_eq_u64_e32 vcc, 0, v[110:111]
	v_cndmask_b32_e64 v85, v84, v159, s[10:11]
	v_cndmask_b32_e64 v84, v100, v158, s[10:11]
	;; [unrolled: 1-line block ×12, first 2 shown]
	v_cndmask_b32_e32 v111, v169, v159, vcc
	v_cndmask_b32_e32 v110, v162, v158, vcc
	s_branch .LBB1_9
.LBB1_22:
	s_endpgm
	.section	.rodata,"a",@progbits
	.p2align	6, 0x0
	.amdhsa_kernel _ZN4RAJA34launch_new_reduce_global_fcn_fixedIZN8rajaperf4apps8FEMSWEEP17runHipVariantImplILm64EEEvNS1_9VariantIDEEUlNS_14LaunchContextTINS_3hip33LaunchContextIndicesAndDimsPolicyINS7_14IndicesAndDimsILb0ELb0ELb0ELb0EEEEEEEE_Li64ENS_4expt15ForallParamPackIJEEEEEvT_T1_
		.amdhsa_group_segment_fixed_size 0
		.amdhsa_private_segment_fixed_size 0
		.amdhsa_kernarg_size 156
		.amdhsa_user_sgpr_count 6
		.amdhsa_user_sgpr_private_segment_buffer 1
		.amdhsa_user_sgpr_dispatch_ptr 0
		.amdhsa_user_sgpr_queue_ptr 0
		.amdhsa_user_sgpr_kernarg_segment_ptr 1
		.amdhsa_user_sgpr_dispatch_id 0
		.amdhsa_user_sgpr_flat_scratch_init 0
		.amdhsa_user_sgpr_private_segment_size 0
		.amdhsa_uses_dynamic_stack 0
		.amdhsa_system_sgpr_private_segment_wavefront_offset 0
		.amdhsa_system_sgpr_workgroup_id_x 1
		.amdhsa_system_sgpr_workgroup_id_y 1
		.amdhsa_system_sgpr_workgroup_id_z 0
		.amdhsa_system_sgpr_workgroup_info 0
		.amdhsa_system_vgpr_workitem_id 0
		.amdhsa_next_free_vgpr 233
		.amdhsa_next_free_sgpr 59
		.amdhsa_reserve_vcc 1
		.amdhsa_reserve_flat_scratch 0
		.amdhsa_float_round_mode_32 0
		.amdhsa_float_round_mode_16_64 0
		.amdhsa_float_denorm_mode_32 3
		.amdhsa_float_denorm_mode_16_64 3
		.amdhsa_dx10_clamp 1
		.amdhsa_ieee_mode 1
		.amdhsa_fp16_overflow 0
		.amdhsa_exception_fp_ieee_invalid_op 0
		.amdhsa_exception_fp_denorm_src 0
		.amdhsa_exception_fp_ieee_div_zero 0
		.amdhsa_exception_fp_ieee_overflow 0
		.amdhsa_exception_fp_ieee_underflow 0
		.amdhsa_exception_fp_ieee_inexact 0
		.amdhsa_exception_int_div_zero 0
	.end_amdhsa_kernel
	.section	.text._ZN4RAJA34launch_new_reduce_global_fcn_fixedIZN8rajaperf4apps8FEMSWEEP17runHipVariantImplILm64EEEvNS1_9VariantIDEEUlNS_14LaunchContextTINS_3hip33LaunchContextIndicesAndDimsPolicyINS7_14IndicesAndDimsILb0ELb0ELb0ELb0EEEEEEEE_Li64ENS_4expt15ForallParamPackIJEEEEEvT_T1_,"axG",@progbits,_ZN4RAJA34launch_new_reduce_global_fcn_fixedIZN8rajaperf4apps8FEMSWEEP17runHipVariantImplILm64EEEvNS1_9VariantIDEEUlNS_14LaunchContextTINS_3hip33LaunchContextIndicesAndDimsPolicyINS7_14IndicesAndDimsILb0ELb0ELb0ELb0EEEEEEEE_Li64ENS_4expt15ForallParamPackIJEEEEEvT_T1_,comdat
.Lfunc_end1:
	.size	_ZN4RAJA34launch_new_reduce_global_fcn_fixedIZN8rajaperf4apps8FEMSWEEP17runHipVariantImplILm64EEEvNS1_9VariantIDEEUlNS_14LaunchContextTINS_3hip33LaunchContextIndicesAndDimsPolicyINS7_14IndicesAndDimsILb0ELb0ELb0ELb0EEEEEEEE_Li64ENS_4expt15ForallParamPackIJEEEEEvT_T1_, .Lfunc_end1-_ZN4RAJA34launch_new_reduce_global_fcn_fixedIZN8rajaperf4apps8FEMSWEEP17runHipVariantImplILm64EEEvNS1_9VariantIDEEUlNS_14LaunchContextTINS_3hip33LaunchContextIndicesAndDimsPolicyINS7_14IndicesAndDimsILb0ELb0ELb0ELb0EEEEEEEE_Li64ENS_4expt15ForallParamPackIJEEEEEvT_T1_
                                        ; -- End function
	.set _ZN4RAJA34launch_new_reduce_global_fcn_fixedIZN8rajaperf4apps8FEMSWEEP17runHipVariantImplILm64EEEvNS1_9VariantIDEEUlNS_14LaunchContextTINS_3hip33LaunchContextIndicesAndDimsPolicyINS7_14IndicesAndDimsILb0ELb0ELb0ELb0EEEEEEEE_Li64ENS_4expt15ForallParamPackIJEEEEEvT_T1_.num_vgpr, 233
	.set _ZN4RAJA34launch_new_reduce_global_fcn_fixedIZN8rajaperf4apps8FEMSWEEP17runHipVariantImplILm64EEEvNS1_9VariantIDEEUlNS_14LaunchContextTINS_3hip33LaunchContextIndicesAndDimsPolicyINS7_14IndicesAndDimsILb0ELb0ELb0ELb0EEEEEEEE_Li64ENS_4expt15ForallParamPackIJEEEEEvT_T1_.num_agpr, 0
	.set _ZN4RAJA34launch_new_reduce_global_fcn_fixedIZN8rajaperf4apps8FEMSWEEP17runHipVariantImplILm64EEEvNS1_9VariantIDEEUlNS_14LaunchContextTINS_3hip33LaunchContextIndicesAndDimsPolicyINS7_14IndicesAndDimsILb0ELb0ELb0ELb0EEEEEEEE_Li64ENS_4expt15ForallParamPackIJEEEEEvT_T1_.numbered_sgpr, 59
	.set _ZN4RAJA34launch_new_reduce_global_fcn_fixedIZN8rajaperf4apps8FEMSWEEP17runHipVariantImplILm64EEEvNS1_9VariantIDEEUlNS_14LaunchContextTINS_3hip33LaunchContextIndicesAndDimsPolicyINS7_14IndicesAndDimsILb0ELb0ELb0ELb0EEEEEEEE_Li64ENS_4expt15ForallParamPackIJEEEEEvT_T1_.num_named_barrier, 0
	.set _ZN4RAJA34launch_new_reduce_global_fcn_fixedIZN8rajaperf4apps8FEMSWEEP17runHipVariantImplILm64EEEvNS1_9VariantIDEEUlNS_14LaunchContextTINS_3hip33LaunchContextIndicesAndDimsPolicyINS7_14IndicesAndDimsILb0ELb0ELb0ELb0EEEEEEEE_Li64ENS_4expt15ForallParamPackIJEEEEEvT_T1_.private_seg_size, 0
	.set _ZN4RAJA34launch_new_reduce_global_fcn_fixedIZN8rajaperf4apps8FEMSWEEP17runHipVariantImplILm64EEEvNS1_9VariantIDEEUlNS_14LaunchContextTINS_3hip33LaunchContextIndicesAndDimsPolicyINS7_14IndicesAndDimsILb0ELb0ELb0ELb0EEEEEEEE_Li64ENS_4expt15ForallParamPackIJEEEEEvT_T1_.uses_vcc, 1
	.set _ZN4RAJA34launch_new_reduce_global_fcn_fixedIZN8rajaperf4apps8FEMSWEEP17runHipVariantImplILm64EEEvNS1_9VariantIDEEUlNS_14LaunchContextTINS_3hip33LaunchContextIndicesAndDimsPolicyINS7_14IndicesAndDimsILb0ELb0ELb0ELb0EEEEEEEE_Li64ENS_4expt15ForallParamPackIJEEEEEvT_T1_.uses_flat_scratch, 0
	.set _ZN4RAJA34launch_new_reduce_global_fcn_fixedIZN8rajaperf4apps8FEMSWEEP17runHipVariantImplILm64EEEvNS1_9VariantIDEEUlNS_14LaunchContextTINS_3hip33LaunchContextIndicesAndDimsPolicyINS7_14IndicesAndDimsILb0ELb0ELb0ELb0EEEEEEEE_Li64ENS_4expt15ForallParamPackIJEEEEEvT_T1_.has_dyn_sized_stack, 0
	.set _ZN4RAJA34launch_new_reduce_global_fcn_fixedIZN8rajaperf4apps8FEMSWEEP17runHipVariantImplILm64EEEvNS1_9VariantIDEEUlNS_14LaunchContextTINS_3hip33LaunchContextIndicesAndDimsPolicyINS7_14IndicesAndDimsILb0ELb0ELb0ELb0EEEEEEEE_Li64ENS_4expt15ForallParamPackIJEEEEEvT_T1_.has_recursion, 0
	.set _ZN4RAJA34launch_new_reduce_global_fcn_fixedIZN8rajaperf4apps8FEMSWEEP17runHipVariantImplILm64EEEvNS1_9VariantIDEEUlNS_14LaunchContextTINS_3hip33LaunchContextIndicesAndDimsPolicyINS7_14IndicesAndDimsILb0ELb0ELb0ELb0EEEEEEEE_Li64ENS_4expt15ForallParamPackIJEEEEEvT_T1_.has_indirect_call, 0
	.section	.AMDGPU.csdata,"",@progbits
; Kernel info:
; codeLenInByte = 20836
; TotalNumSgprs: 63
; NumVgprs: 233
; ScratchSize: 0
; MemoryBound: 0
; FloatMode: 240
; IeeeMode: 1
; LDSByteSize: 0 bytes/workgroup (compile time only)
; SGPRBlocks: 7
; VGPRBlocks: 58
; NumSGPRsForWavesPerEU: 63
; NumVGPRsForWavesPerEU: 233
; Occupancy: 1
; WaveLimiterHint : 1
; COMPUTE_PGM_RSRC2:SCRATCH_EN: 0
; COMPUTE_PGM_RSRC2:USER_SGPR: 6
; COMPUTE_PGM_RSRC2:TRAP_HANDLER: 0
; COMPUTE_PGM_RSRC2:TGID_X_EN: 1
; COMPUTE_PGM_RSRC2:TGID_Y_EN: 1
; COMPUTE_PGM_RSRC2:TGID_Z_EN: 0
; COMPUTE_PGM_RSRC2:TIDIG_COMP_CNT: 0
	.section	.AMDGPU.gpr_maximums,"",@progbits
	.set amdgpu.max_num_vgpr, 0
	.set amdgpu.max_num_agpr, 0
	.set amdgpu.max_num_sgpr, 0
	.section	.AMDGPU.csdata,"",@progbits
	.type	__hip_cuid_2a8e484ec095cb05,@object ; @__hip_cuid_2a8e484ec095cb05
	.section	.bss,"aw",@nobits
	.globl	__hip_cuid_2a8e484ec095cb05
__hip_cuid_2a8e484ec095cb05:
	.byte	0                               ; 0x0
	.size	__hip_cuid_2a8e484ec095cb05, 1

	.ident	"AMD clang version 22.0.0git (https://github.com/RadeonOpenCompute/llvm-project roc-7.2.4 26084 f58b06dce1f9c15707c5f808fd002e18c2accf7e)"
	.section	".note.GNU-stack","",@progbits
	.addrsig
	.addrsig_sym __hip_cuid_2a8e484ec095cb05
	.amdgpu_metadata
---
amdhsa.kernels:
  - .args:
      - .address_space:  global
        .offset:         0
        .size:           8
        .value_kind:     global_buffer
      - .address_space:  global
        .offset:         8
        .size:           8
        .value_kind:     global_buffer
      - .address_space:  global
        .offset:         16
        .size:           8
        .value_kind:     global_buffer
      - .address_space:  global
        .offset:         24
        .size:           8
        .value_kind:     global_buffer
      - .address_space:  global
        .offset:         32
        .size:           8
        .value_kind:     global_buffer
      - .address_space:  global
        .offset:         40
        .size:           8
        .value_kind:     global_buffer
      - .offset:         48
        .size:           8
        .value_kind:     by_value
      - .offset:         56
        .size:           8
        .value_kind:     by_value
      - .offset:         64
        .size:           8
        .value_kind:     by_value
      - .address_space:  global
        .offset:         72
        .size:           8
        .value_kind:     global_buffer
      - .address_space:  global
        .offset:         80
        .size:           8
        .value_kind:     global_buffer
      - .address_space:  global
        .offset:         88
        .size:           8
        .value_kind:     global_buffer
      - .address_space:  global
        .offset:         96
        .size:           8
        .value_kind:     global_buffer
      - .address_space:  global
        .offset:         104
        .size:           8
        .value_kind:     global_buffer
      - .address_space:  global
        .offset:         112
        .size:           8
        .value_kind:     global_buffer
      - .address_space:  global
        .offset:         120
        .size:           8
        .value_kind:     global_buffer
      - .address_space:  global
        .offset:         128
        .size:           8
        .value_kind:     global_buffer
      - .address_space:  global
        .offset:         136
        .size:           8
        .value_kind:     global_buffer
    .group_segment_fixed_size: 0
    .kernarg_segment_align: 8
    .kernarg_segment_size: 144
    .language:       OpenCL C
    .language_version:
      - 2
      - 0
    .max_flat_workgroup_size: 64
    .name:           _ZN8rajaperf4apps10FEMSweep3DILm64EEEvPdS2_S2_S2_S2_S2_lllPlS3_S3_S3_S3_S3_S3_S3_S3_
    .private_segment_fixed_size: 0
    .sgpr_count:     62
    .sgpr_spill_count: 0
    .symbol:         _ZN8rajaperf4apps10FEMSweep3DILm64EEEvPdS2_S2_S2_S2_S2_lllPlS3_S3_S3_S3_S3_S3_S3_S3_.kd
    .uniform_work_group_size: 1
    .uses_dynamic_stack: false
    .vgpr_count:     233
    .vgpr_spill_count: 0
    .wavefront_size: 64
  - .args:
      - .offset:         0
        .size:           152
        .value_kind:     by_value
      - .offset:         152
        .size:           1
        .value_kind:     by_value
    .group_segment_fixed_size: 0
    .kernarg_segment_align: 8
    .kernarg_segment_size: 156
    .language:       OpenCL C
    .language_version:
      - 2
      - 0
    .max_flat_workgroup_size: 64
    .name:           _ZN4RAJA34launch_new_reduce_global_fcn_fixedIZN8rajaperf4apps8FEMSWEEP17runHipVariantImplILm64EEEvNS1_9VariantIDEEUlNS_14LaunchContextTINS_3hip33LaunchContextIndicesAndDimsPolicyINS7_14IndicesAndDimsILb0ELb0ELb0ELb0EEEEEEEE_Li64ENS_4expt15ForallParamPackIJEEEEEvT_T1_
    .private_segment_fixed_size: 0
    .sgpr_count:     63
    .sgpr_spill_count: 0
    .symbol:         _ZN4RAJA34launch_new_reduce_global_fcn_fixedIZN8rajaperf4apps8FEMSWEEP17runHipVariantImplILm64EEEvNS1_9VariantIDEEUlNS_14LaunchContextTINS_3hip33LaunchContextIndicesAndDimsPolicyINS7_14IndicesAndDimsILb0ELb0ELb0ELb0EEEEEEEE_Li64ENS_4expt15ForallParamPackIJEEEEEvT_T1_.kd
    .uniform_work_group_size: 1
    .uses_dynamic_stack: false
    .vgpr_count:     233
    .vgpr_spill_count: 0
    .wavefront_size: 64
amdhsa.target:   amdgcn-amd-amdhsa--gfx906
amdhsa.version:
  - 1
  - 2
...

	.end_amdgpu_metadata
